;; amdgpu-corpus repo=ROCm/rocFFT kind=compiled arch=gfx1030 opt=O3
	.text
	.amdgcn_target "amdgcn-amd-amdhsa--gfx1030"
	.amdhsa_code_object_version 6
	.protected	bluestein_single_fwd_len2304_dim1_dp_op_CI_CI ; -- Begin function bluestein_single_fwd_len2304_dim1_dp_op_CI_CI
	.globl	bluestein_single_fwd_len2304_dim1_dp_op_CI_CI
	.p2align	8
	.type	bluestein_single_fwd_len2304_dim1_dp_op_CI_CI,@function
bluestein_single_fwd_len2304_dim1_dp_op_CI_CI: ; @bluestein_single_fwd_len2304_dim1_dp_op_CI_CI
; %bb.0:
	s_load_dwordx4 s[12:15], s[4:5], 0x28
	v_mul_u32_u24_e32 v1, 0x156, v0
	s_mov_b64 s[22:23], s[2:3]
	s_mov_b64 s[20:21], s[0:1]
	v_mov_b32_e32 v255, 0
	s_add_u32 s20, s20, s7
	v_lshrrev_b32_e32 v1, 16, v1
	s_addc_u32 s21, s21, 0
	s_mov_b32 s0, exec_lo
	v_add_nc_u32_e32 v254, s6, v1
	s_waitcnt lgkmcnt(0)
	v_cmpx_gt_u64_e64 s[12:13], v[254:255]
	s_cbranch_execz .LBB0_2
; %bb.1:
	s_clause 0x1
	s_load_dwordx4 s[0:3], s[4:5], 0x18
	s_load_dwordx4 s[8:11], s[4:5], 0x0
	v_mul_lo_u16 v1, 0xc0, v1
	v_sub_nc_u16 v88, v0, v1
	v_and_b32_e32 v201, 0xffff, v88
	v_lshlrev_b32_e32 v200, 4, v201
	v_or_b32_e32 v255, 0x300, v201
	v_or_b32_e32 v11, 0x600, v201
	s_waitcnt lgkmcnt(0)
	s_load_dwordx4 s[16:19], s[0:1], 0x0
	s_add_u32 s12, s8, 0x9000
	s_addc_u32 s13, s9, 0
	v_lshlrev_b32_e32 v202, 4, v255
	v_lshlrev_b32_e32 v196, 4, v11
	s_waitcnt lgkmcnt(0)
	v_mad_u64_u32 v[0:1], null, s18, v254, 0
	v_mad_u64_u32 v[2:3], null, s16, v201, 0
	s_mul_hi_u32 s6, s16, 0x1800
	s_mul_i32 s1, s16, 0x1800
	v_mad_u64_u32 v[4:5], null, s19, v254, v[1:2]
	v_mad_u64_u32 v[5:6], null, s17, v201, v[3:4]
	v_mov_b32_e32 v1, v4
	v_lshlrev_b64 v[0:1], 4, v[0:1]
	v_mov_b32_e32 v3, v5
	v_mad_u64_u32 v[4:5], null, s16, v255, 0
	v_lshlrev_b64 v[2:3], 4, v[2:3]
	v_add_co_u32 v9, vcc_lo, s14, v0
	v_add_co_ci_u32_e32 v10, vcc_lo, s15, v1, vcc_lo
	v_mov_b32_e32 v0, v5
	v_add_co_u32 v1, vcc_lo, v9, v2
	v_add_co_ci_u32_e32 v2, vcc_lo, v10, v3, vcc_lo
	global_load_dwordx4 v[12:15], v200, s[8:9]
	global_load_dwordx4 v[16:19], v[1:2], off
	v_mad_u64_u32 v[5:6], null, s17, v255, v[0:1]
	v_mad_u64_u32 v[6:7], null, s16, v11, 0
	buffer_store_dword v11, off, s[20:23], 0 ; 4-byte Folded Spill
	v_lshlrev_b64 v[3:4], 4, v[4:5]
	v_mov_b32_e32 v0, v7
	v_add_co_u32 v3, vcc_lo, v9, v3
	v_mad_u64_u32 v[7:8], null, s17, v11, v[0:1]
	v_add_co_ci_u32_e32 v4, vcc_lo, v10, v4, vcc_lo
	global_load_dwordx4 v[60:63], v202, s[8:9]
	global_load_dwordx4 v[20:23], v[3:4], off
	v_lshlrev_b64 v[3:4], 4, v[6:7]
	v_add_co_u32 v6, s0, s8, v200
	v_add_co_ci_u32_e64 v7, null, s9, 0, s0
	s_mul_i32 s0, s17, 0x1800
	v_add_co_u32 v3, vcc_lo, v9, v3
	v_add_co_ci_u32_e32 v4, vcc_lo, v10, v4, vcc_lo
	global_load_dwordx4 v[8:11], v196, s[8:9]
	global_load_dwordx4 v[24:27], v[3:4], off
	v_add_co_u32 v3, vcc_lo, 0x1800, v6
	v_add_co_ci_u32_e32 v4, vcc_lo, 0, v7, vcc_lo
	s_add_i32 s0, s6, s0
	v_add_co_u32 v0, vcc_lo, v1, s1
	v_add_co_ci_u32_e32 v1, vcc_lo, s0, v2, vcc_lo
	global_load_dwordx4 v[68:71], v[3:4], off
	global_load_dwordx4 v[40:43], v[0:1], off
	v_mad_u64_u32 v[0:1], null, 0x3000, s16, v[0:1]
	s_mul_i32 s6, s17, 0x3000
	v_add_co_u32 v2, vcc_lo, 0x4800, v6
	v_add_co_ci_u32_e32 v3, vcc_lo, 0, v7, vcc_lo
	s_mov_b32 s9, 0xbfebb67a
	v_add_nc_u32_e32 v1, s6, v1
	global_load_dwordx4 v[32:35], v[2:3], off
	global_load_dwordx4 v[44:47], v[0:1], off
	v_mad_u64_u32 v[0:1], null, 0x3000, s16, v[0:1]
	v_add_co_u32 v2, vcc_lo, 0x7800, v6
	v_add_co_ci_u32_e32 v3, vcc_lo, 0, v7, vcc_lo
	v_add_nc_u32_e32 v1, s6, v1
	global_load_dwordx4 v[28:31], v[2:3], off
	global_load_dwordx4 v[48:51], v[0:1], off
	v_mad_u64_u32 v[0:1], null, 0xffff9400, s16, v[0:1]
	s_mul_i32 s6, s17, 0xffff9400
	v_add_co_u32 v2, vcc_lo, 0x800, v6
	s_sub_i32 s6, s6, s16
	v_add_co_ci_u32_e32 v3, vcc_lo, 0, v7, vcc_lo
	v_add_nc_u32_e32 v1, s6, v1
	global_load_dwordx4 v[36:39], v[2:3], off offset:1024
	global_load_dwordx4 v[52:55], v[0:1], off
	s_mov_b32 s6, 0xe8584caa
	s_mov_b32 s7, 0x3febb67a
	;; [unrolled: 1-line block ×3, first 2 shown]
	s_waitcnt vmcnt(13)
	buffer_store_dword v12, off, s[20:23], 0 offset:36 ; 4-byte Folded Spill
	buffer_store_dword v13, off, s[20:23], 0 offset:40 ; 4-byte Folded Spill
	;; [unrolled: 1-line block ×4, first 2 shown]
	s_waitcnt vmcnt(12)
	v_mul_f64 v[2:3], v[18:19], v[14:15]
	v_mul_f64 v[4:5], v[16:17], v[14:15]
	v_fma_f64 v[56:57], v[16:17], v[12:13], v[2:3]
	v_fma_f64 v[58:59], v[18:19], v[12:13], -v[4:5]
	s_waitcnt vmcnt(11)
	v_mov_b32_e32 v12, v60
	v_mov_b32_e32 v13, v61
	;; [unrolled: 1-line block ×4, first 2 shown]
	buffer_store_dword v12, off, s[20:23], 0 offset:20 ; 4-byte Folded Spill
	buffer_store_dword v13, off, s[20:23], 0 offset:24 ; 4-byte Folded Spill
	;; [unrolled: 1-line block ×4, first 2 shown]
	s_waitcnt vmcnt(9)
	buffer_store_dword v8, off, s[20:23], 0 offset:4 ; 4-byte Folded Spill
	buffer_store_dword v9, off, s[20:23], 0 offset:8 ; 4-byte Folded Spill
	;; [unrolled: 1-line block ×4, first 2 shown]
	v_mul_f64 v[2:3], v[22:23], v[14:15]
	v_mul_f64 v[4:5], v[20:21], v[14:15]
	v_fma_f64 v[60:61], v[20:21], v[12:13], v[2:3]
	v_fma_f64 v[62:63], v[22:23], v[12:13], -v[4:5]
	s_waitcnt vmcnt(8)
	v_mul_f64 v[2:3], v[26:27], v[10:11]
	v_mul_f64 v[4:5], v[24:25], v[10:11]
	v_fma_f64 v[64:65], v[24:25], v[8:9], v[2:3]
	v_fma_f64 v[66:67], v[26:27], v[8:9], -v[4:5]
	s_waitcnt vmcnt(7)
	v_mov_b32_e32 v8, v68
	v_mov_b32_e32 v9, v69
	;; [unrolled: 1-line block ×4, first 2 shown]
	buffer_store_dword v8, off, s[20:23], 0 offset:52 ; 4-byte Folded Spill
	buffer_store_dword v9, off, s[20:23], 0 offset:56 ; 4-byte Folded Spill
	;; [unrolled: 1-line block ×4, first 2 shown]
	s_waitcnt vmcnt(6)
	v_mul_f64 v[2:3], v[42:43], v[10:11]
	v_mul_f64 v[4:5], v[40:41], v[10:11]
	v_fma_f64 v[68:69], v[40:41], v[8:9], v[2:3]
	s_waitcnt vmcnt(4)
	v_mul_f64 v[2:3], v[46:47], v[34:35]
	v_fma_f64 v[70:71], v[42:43], v[8:9], -v[4:5]
	v_mul_f64 v[4:5], v[44:45], v[34:35]
	v_fma_f64 v[72:73], v[44:45], v[32:33], v[2:3]
	s_waitcnt vmcnt(2)
	v_mul_f64 v[2:3], v[50:51], v[30:31]
	v_fma_f64 v[74:75], v[46:47], v[32:33], -v[4:5]
	;; [unrolled: 5-line block ×3, first 2 shown]
	v_mul_f64 v[4:5], v[52:53], v[38:39]
	v_fma_f64 v[52:53], v[52:53], v[36:37], v[2:3]
	v_add_co_u32 v2, vcc_lo, 0x2000, v6
	v_add_co_ci_u32_e32 v3, vcc_lo, 0, v7, vcc_lo
	v_add_co_u32 v0, vcc_lo, v0, s1
	v_add_co_ci_u32_e32 v1, vcc_lo, s0, v1, vcc_lo
	global_load_dwordx4 v[44:47], v[2:3], off offset:1024
	global_load_dwordx4 v[16:19], v[0:1], off
	v_fma_f64 v[54:55], v[54:55], v[36:37], -v[4:5]
	v_add_co_u32 v0, vcc_lo, v0, s1
	v_add_co_ci_u32_e32 v1, vcc_lo, s0, v1, vcc_lo
	s_waitcnt vmcnt(0)
	v_mul_f64 v[2:3], v[18:19], v[46:47]
	v_mul_f64 v[4:5], v[16:17], v[46:47]
	v_fma_f64 v[76:77], v[16:17], v[44:45], v[2:3]
	v_add_co_u32 v2, vcc_lo, 0x3800, v6
	v_add_co_ci_u32_e32 v3, vcc_lo, 0, v7, vcc_lo
	v_fma_f64 v[78:79], v[18:19], v[44:45], -v[4:5]
	global_load_dwordx4 v[40:43], v[2:3], off offset:1024
	global_load_dwordx4 v[16:19], v[0:1], off
	v_add_co_u32 v0, vcc_lo, v0, s1
	v_add_co_ci_u32_e32 v1, vcc_lo, s0, v1, vcc_lo
	s_waitcnt vmcnt(0)
	v_mul_f64 v[2:3], v[18:19], v[42:43]
	v_mul_f64 v[4:5], v[16:17], v[42:43]
	v_fma_f64 v[80:81], v[16:17], v[40:41], v[2:3]
	v_add_co_u32 v2, vcc_lo, 0x5000, v6
	v_add_co_ci_u32_e32 v3, vcc_lo, 0, v7, vcc_lo
	v_fma_f64 v[82:83], v[18:19], v[40:41], -v[4:5]
	global_load_dwordx4 v[24:27], v[2:3], off offset:1024
	global_load_dwordx4 v[16:19], v[0:1], off
	;; [unrolled: 11-line block ×4, first 2 shown]
	ds_write_b128 v200, v[56:59]
	ds_write_b128 v200, v[60:63] offset:12288
	ds_write_b128 v200, v[64:67] offset:24576
	;; [unrolled: 1-line block ×7, first 2 shown]
	s_load_dwordx4 s[0:3], s[2:3], 0x0
	v_cmp_gt_u16_e32 vcc_lo, 0x90, v88
	s_waitcnt vmcnt(0)
	v_mul_f64 v[0:1], v[95:96], v[18:19]
	v_mul_f64 v[2:3], v[93:94], v[18:19]
	v_fma_f64 v[93:94], v[93:94], v[16:17], v[0:1]
	v_fma_f64 v[95:96], v[95:96], v[16:17], -v[2:3]
	ds_write_b128 v200, v[80:83] offset:15360
	ds_write_b128 v200, v[84:87] offset:21504
	;; [unrolled: 1-line block ×4, first 2 shown]
	s_waitcnt lgkmcnt(0)
	s_waitcnt_vscnt null, 0x0
	s_barrier
	buffer_gl0_inv
	ds_read_b128 v[48:51], v200
	ds_read_b128 v[52:55], v200 offset:12288
	ds_read_b128 v[56:59], v200 offset:9216
	;; [unrolled: 1-line block ×5, first 2 shown]
	s_waitcnt lgkmcnt(4)
	v_add_f64 v[0:1], v[48:49], v[52:53]
	v_add_f64 v[2:3], v[50:51], v[54:55]
	s_waitcnt lgkmcnt(1)
	v_add_f64 v[4:5], v[52:53], v[64:65]
	v_add_f64 v[6:7], v[54:55], v[66:67]
	v_add_f64 v[8:9], v[54:55], -v[66:67]
	v_add_f64 v[10:11], v[52:53], -v[64:65]
	s_waitcnt lgkmcnt(0)
	v_add_f64 v[103:104], v[68:69], -v[60:61]
	v_add_f64 v[101:102], v[70:71], -v[62:63]
	v_add_f64 v[0:1], v[0:1], v[64:65]
	v_add_f64 v[2:3], v[2:3], v[66:67]
	ds_read_b128 v[52:55], v200 offset:6144
	ds_read_b128 v[64:67], v200 offset:18432
	;; [unrolled: 1-line block ×6, first 2 shown]
	v_fma_f64 v[4:5], v[4:5], -0.5, v[48:49]
	s_waitcnt lgkmcnt(0)
	s_barrier
	buffer_gl0_inv
	v_fma_f64 v[6:7], v[6:7], -0.5, v[50:51]
	v_add_f64 v[12:13], v[52:53], v[64:65]
	v_add_f64 v[14:15], v[54:55], v[66:67]
	;; [unrolled: 1-line block ×3, first 2 shown]
	v_add_f64 v[64:65], v[64:65], -v[80:81]
	v_add_f64 v[91:92], v[66:67], v[82:83]
	v_add_f64 v[66:67], v[66:67], -v[82:83]
	v_add_f64 v[93:94], v[72:73], v[84:85]
	;; [unrolled: 2-line block ×4, first 2 shown]
	v_add_f64 v[80:81], v[76:77], v[72:73]
	v_add_f64 v[14:15], v[14:15], v[82:83]
	;; [unrolled: 1-line block ×10, first 2 shown]
	v_fma_f64 v[80:81], v[89:90], -0.5, v[52:53]
	v_add_f64 v[70:71], v[82:83], v[62:63]
	v_fma_f64 v[82:83], v[91:92], -0.5, v[54:55]
	v_add_f64 v[52:53], v[0:1], v[12:13]
	v_add_f64 v[54:55], v[2:3], v[14:15]
	v_add_f64 v[60:61], v[0:1], -v[12:13]
	v_add_f64 v[62:63], v[2:3], -v[14:15]
	v_fma_f64 v[2:3], v[86:87], -0.5, v[56:57]
	v_mov_b32_e32 v89, 4
	v_fma_f64 v[0:1], v[84:85], -0.5, v[58:59]
	v_fma_f64 v[12:13], v[93:94], -0.5, v[76:77]
	;; [unrolled: 1-line block ×3, first 2 shown]
	v_add_co_u32 v90, null, 0xc0, v201
	v_add_f64 v[48:49], v[72:73], v[68:69]
	v_add_f64 v[56:57], v[72:73], -v[68:69]
	v_mul_lo_u16 v68, v88, 6
	v_add_f64 v[50:51], v[74:75], v[70:71]
	v_add_f64 v[58:59], v[74:75], -v[70:71]
	v_fma_f64 v[70:71], v[10:11], s[8:9], v[6:7]
	v_fma_f64 v[6:7], v[10:11], s[6:7], v[6:7]
	v_lshlrev_b32_sdwa v204, v89, v68 dst_sel:DWORD dst_unused:UNUSED_PAD src0_sel:DWORD src1_sel:WORD_0
	ds_write_b128 v204, v[52:55]
	ds_write_b128 v204, v[60:63] offset:48
	v_fma_f64 v[52:53], v[64:65], s[8:9], v[82:83]
	v_fma_f64 v[54:55], v[66:67], s[6:7], v[80:81]
	v_fma_f64 v[66:67], v[66:67], s[8:9], v[80:81]
	v_fma_f64 v[68:69], v[8:9], s[6:7], v[4:5]
	v_fma_f64 v[64:65], v[64:65], s[6:7], v[82:83]
	v_fma_f64 v[4:5], v[8:9], s[8:9], v[4:5]
	v_mul_f64 v[60:61], v[52:53], s[6:7]
	v_mul_f64 v[8:9], v[66:67], -0.5
	v_mul_f64 v[10:11], v[64:65], -0.5
	v_fma_f64 v[60:61], v[54:55], 0.5, v[60:61]
	v_mul_f64 v[54:55], v[54:55], s[8:9]
	v_fma_f64 v[8:9], v[64:65], s[6:7], v[8:9]
	v_fma_f64 v[10:11], v[66:67], s[8:9], v[10:11]
	v_fma_f64 v[62:63], v[52:53], 0.5, v[54:55]
	v_add_f64 v[52:53], v[68:69], v[60:61]
	v_add_f64 v[60:61], v[68:69], -v[60:61]
	v_add_f64 v[64:65], v[4:5], v[8:9]
	v_add_f64 v[68:69], v[4:5], -v[8:9]
	v_fma_f64 v[4:5], v[103:104], s[8:9], v[0:1]
	v_add_f64 v[66:67], v[6:7], v[10:11]
	v_fma_f64 v[0:1], v[103:104], s[6:7], v[0:1]
	v_add_f64 v[54:55], v[70:71], v[62:63]
	v_add_f64 v[62:63], v[70:71], -v[62:63]
	v_add_f64 v[70:71], v[6:7], -v[10:11]
	v_fma_f64 v[6:7], v[101:102], s[6:7], v[2:3]
	v_fma_f64 v[2:3], v[101:102], s[8:9], v[2:3]
	v_mul_f64 v[8:9], v[4:5], s[6:7]
	v_fma_f64 v[10:11], v[99:100], s[8:9], v[14:15]
	ds_write_b128 v204, v[52:55] offset:16
	ds_write_b128 v204, v[64:67] offset:32
	;; [unrolled: 1-line block ×4, first 2 shown]
	v_and_b32_e32 v54, 0xff, v88
	v_fma_f64 v[8:9], v[6:7], 0.5, v[8:9]
	v_mul_f64 v[6:7], v[6:7], s[8:9]
	v_fma_f64 v[4:5], v[4:5], 0.5, v[6:7]
	v_fma_f64 v[6:7], v[97:98], s[6:7], v[12:13]
	v_add_f64 v[74:75], v[10:11], v[4:5]
	v_add_f64 v[72:73], v[6:7], v[8:9]
	v_add_f64 v[76:77], v[6:7], -v[8:9]
	v_mul_f64 v[8:9], v[2:3], -0.5
	v_fma_f64 v[6:7], v[99:100], s[6:7], v[14:15]
	v_add_f64 v[78:79], v[10:11], -v[4:5]
	v_fma_f64 v[4:5], v[97:98], s[8:9], v[12:13]
	v_fma_f64 v[8:9], v[0:1], s[6:7], v[8:9]
	v_mul_f64 v[0:1], v[0:1], -0.5
	v_add_f64 v[84:85], v[4:5], -v[8:9]
	v_fma_f64 v[0:1], v[2:3], s[8:9], v[0:1]
	v_add_f64 v[80:81], v[4:5], v[8:9]
	v_mov_b32_e32 v4, 0xaaab
	v_mul_u32_u24_sdwa v4, v90, v4 dst_sel:DWORD dst_unused:UNUSED_PAD src0_sel:WORD_0 src1_sel:DWORD
	v_add_f64 v[82:83], v[6:7], v[0:1]
	v_add_f64 v[86:87], v[6:7], -v[0:1]
	v_mul_u32_u24_e32 v0, 6, v90
	v_lshlrev_b32_e32 v203, 4, v0
	v_mul_lo_u16 v0, 0xab, v54
	ds_write_b128 v203, v[48:51]
	ds_write_b128 v203, v[72:75] offset:16
	ds_write_b128 v203, v[80:83] offset:32
	v_lshrrev_b16 v60, 10, v0
	ds_write_b128 v203, v[56:59] offset:48
	ds_write_b128 v203, v[76:79] offset:64
	;; [unrolled: 1-line block ×3, first 2 shown]
	s_waitcnt lgkmcnt(0)
	s_barrier
	v_mul_lo_u16 v0, v60, 6
	buffer_gl0_inv
	ds_read_b128 v[61:64], v200 offset:18432
	ds_read_b128 v[91:94], v200 offset:15360
	;; [unrolled: 1-line block ×4, first 2 shown]
	v_sub_nc_u16 v0, v88, v0
	v_and_b32_e32 v55, 0xff, v0
	v_mad_u64_u32 v[52:53], null, 0x50, v55, s[10:11]
	s_clause 0x2
	global_load_dwordx4 v[48:51], v[52:53], off offset:32
	global_load_dwordx4 v[56:59], v[52:53], off offset:48
	;; [unrolled: 1-line block ×3, first 2 shown]
	s_waitcnt vmcnt(2) lgkmcnt(3)
	v_mul_f64 v[2:3], v[61:62], v[50:51]
	v_mul_f64 v[0:1], v[63:64], v[50:51]
	s_waitcnt vmcnt(0) lgkmcnt(1)
	v_mul_f64 v[6:7], v[72:73], v[70:71]
	v_mul_f64 v[8:9], v[74:75], v[70:71]
	v_fma_f64 v[2:3], v[63:64], v[48:49], v[2:3]
	v_lshrrev_b32_e32 v63, 18, v4
	v_fma_f64 v[6:7], v[74:75], v[68:69], v[6:7]
	v_fma_f64 v[8:9], v[72:73], v[68:69], -v[8:9]
	v_fma_f64 v[0:1], v[61:62], v[48:49], -v[0:1]
	v_mul_lo_u16 v4, v63, 6
	v_sub_nc_u16 v139, v90, v4
	v_mul_lo_u16 v4, 0x50, v139
	v_and_b32_e32 v4, 0xffff, v4
	v_add_co_u32 v4, s14, s10, v4
	v_add_co_ci_u32_e64 v5, null, s11, 0, s14
	s_clause 0x1
	global_load_dwordx4 v[64:67], v[4:5], off
	global_load_dwordx4 v[76:79], v[4:5], off offset:32
	ds_read_b128 v[72:75], v200 offset:21504
	ds_read_b128 v[99:102], v200 offset:24576
	global_load_dwordx4 v[84:87], v[4:5], off offset:16
	s_waitcnt vmcnt(1) lgkmcnt(1)
	v_mul_f64 v[10:11], v[74:75], v[78:79]
	v_mul_f64 v[12:13], v[72:73], v[78:79]
	v_fma_f64 v[10:11], v[72:73], v[76:77], -v[10:11]
	v_fma_f64 v[12:13], v[74:75], v[76:77], v[12:13]
	s_clause 0x1
	global_load_dwordx4 v[72:75], v[4:5], off offset:64
	global_load_dwordx4 v[80:83], v[4:5], off offset:48
	ds_read_b128 v[103:106], v200 offset:33792
	ds_read_b128 v[107:110], v200
	s_clause 0x1
	global_load_dwordx4 v[144:147], v[52:53], off
	global_load_dwordx4 v[140:143], v[52:53], off offset:16
	s_waitcnt vmcnt(3) lgkmcnt(1)
	v_mul_f64 v[4:5], v[105:106], v[74:75]
	v_mul_f64 v[14:15], v[103:104], v[74:75]
	v_fma_f64 v[4:5], v[103:104], v[72:73], -v[4:5]
	v_fma_f64 v[14:15], v[105:106], v[72:73], v[14:15]
	ds_read_b128 v[103:106], v200 offset:6144
	ds_read_b128 v[111:114], v200 offset:3072
	s_waitcnt vmcnt(1) lgkmcnt(1)
	v_mul_f64 v[52:53], v[105:106], v[146:147]
	v_mul_f64 v[61:62], v[103:104], v[146:147]
	v_fma_f64 v[52:53], v[103:104], v[144:145], -v[52:53]
	v_fma_f64 v[61:62], v[105:106], v[144:145], v[61:62]
	ds_read_b128 v[103:106], v200 offset:9216
	ds_read_b128 v[115:118], v200 offset:12288
	s_waitcnt vmcnt(0) lgkmcnt(0)
	s_barrier
	buffer_gl0_inv
	v_mul_f64 v[119:120], v[105:106], v[66:67]
	v_fma_f64 v[123:124], v[103:104], v[64:65], -v[119:120]
	v_mul_f64 v[103:104], v[103:104], v[66:67]
	v_fma_f64 v[125:126], v[105:106], v[64:65], v[103:104]
	v_mul_f64 v[103:104], v[117:118], v[142:143]
	v_fma_f64 v[119:120], v[115:116], v[140:141], -v[103:104]
	v_mul_f64 v[103:104], v[115:116], v[142:143]
	v_fma_f64 v[115:116], v[117:118], v[140:141], v[103:104]
	;; [unrolled: 4-line block ×4, first 2 shown]
	v_mul_f64 v[91:92], v[97:98], v[82:83]
	v_add_f64 v[93:94], v[109:110], v[115:116]
	v_fma_f64 v[131:132], v[95:96], v[80:81], -v[91:92]
	v_mul_f64 v[91:92], v[95:96], v[82:83]
	v_fma_f64 v[133:134], v[97:98], v[80:81], v[91:92]
	v_add_f64 v[91:92], v[119:120], v[117:118]
	v_add_f64 v[97:98], v[93:94], v[121:122]
	v_fma_f64 v[135:136], v[91:92], -0.5, v[107:108]
	v_add_f64 v[91:92], v[115:116], v[121:122]
	v_fma_f64 v[137:138], v[91:92], -0.5, v[109:110]
	v_add_f64 v[91:92], v[107:108], v[119:120]
	v_add_f64 v[95:96], v[91:92], v[117:118]
	;; [unrolled: 1-line block ×7, first 2 shown]
	v_add_f64 v[95:96], v[95:96], -v[99:100]
	v_add_f64 v[99:100], v[127:128], v[131:132]
	v_add_f64 v[93:94], v[97:98], v[101:102]
	v_add_f64 v[97:98], v[97:98], -v[101:102]
	v_add_f64 v[101:102], v[113:114], v[129:130]
	v_fma_f64 v[148:149], v[99:100], -0.5, v[111:112]
	v_add_f64 v[99:100], v[129:130], v[133:134]
	v_add_f64 v[105:106], v[101:102], v[133:134]
	v_fma_f64 v[150:151], v[99:100], -0.5, v[113:114]
	v_add_f64 v[99:100], v[111:112], v[127:128]
	v_add_f64 v[103:104], v[99:100], v[131:132]
	;; [unrolled: 1-line block ×7, first 2 shown]
	v_add_f64 v[103:104], v[103:104], -v[107:108]
	v_add_f64 v[107:108], v[0:1], v[8:9]
	v_add_f64 v[0:1], v[0:1], -v[8:9]
	v_add_f64 v[8:9], v[2:3], v[6:7]
	v_add_f64 v[2:3], v[2:3], -v[6:7]
	v_add_f64 v[6:7], v[115:116], -v[121:122]
	v_add_f64 v[101:102], v[105:106], v[109:110]
	v_add_f64 v[105:106], v[105:106], -v[109:110]
	v_fma_f64 v[52:53], v[107:108], -0.5, v[52:53]
	v_fma_f64 v[8:9], v[8:9], -0.5, v[61:62]
	v_add_f64 v[61:62], v[119:120], -v[117:118]
	v_fma_f64 v[115:116], v[6:7], s[6:7], v[135:136]
	v_fma_f64 v[6:7], v[6:7], s[8:9], v[135:136]
	;; [unrolled: 1-line block ×8, first 2 shown]
	v_mul_f64 v[52:53], v[2:3], -0.5
	v_mul_f64 v[111:112], v[107:108], s[6:7]
	v_fma_f64 v[52:53], v[0:1], s[6:7], v[52:53]
	v_fma_f64 v[111:112], v[109:110], 0.5, v[111:112]
	v_mul_f64 v[109:110], v[109:110], s[8:9]
	v_mul_f64 v[0:1], v[0:1], -0.5
	v_add_f64 v[119:120], v[6:7], -v[52:53]
	v_fma_f64 v[113:114], v[107:108], 0.5, v[109:110]
	v_fma_f64 v[0:1], v[2:3], s[8:9], v[0:1]
	v_add_f64 v[2:3], v[10:11], -v[4:5]
	v_add_f64 v[107:108], v[115:116], v[111:112]
	v_add_f64 v[111:112], v[115:116], -v[111:112]
	v_add_f64 v[115:116], v[6:7], v[52:53]
	;; [unrolled: 2-line block ×5, first 2 shown]
	v_add_f64 v[4:5], v[12:13], v[14:15]
	v_add_f64 v[8:9], v[129:130], -v[133:134]
	v_add_f64 v[10:11], v[127:128], -v[131:132]
	v_fma_f64 v[0:1], v[0:1], -0.5, v[123:124]
	v_fma_f64 v[4:5], v[4:5], -0.5, v[125:126]
	v_fma_f64 v[61:62], v[10:11], s[8:9], v[150:151]
	v_fma_f64 v[14:15], v[6:7], s[6:7], v[0:1]
	;; [unrolled: 1-line block ×7, first 2 shown]
	v_mul_f64 v[52:53], v[12:13], s[6:7]
	v_fma_f64 v[52:53], v[14:15], 0.5, v[52:53]
	v_mul_f64 v[14:15], v[14:15], s[8:9]
	v_fma_f64 v[12:13], v[12:13], 0.5, v[14:15]
	v_fma_f64 v[14:15], v[8:9], s[6:7], v[148:149]
	v_mul_f64 v[8:9], v[0:1], -0.5
	v_add_f64 v[125:126], v[61:62], v[12:13]
	v_add_f64 v[123:124], v[14:15], v[52:53]
	v_fma_f64 v[8:9], v[2:3], s[6:7], v[8:9]
	v_mul_f64 v[2:3], v[2:3], -0.5
	v_add_f64 v[127:128], v[14:15], -v[52:53]
	v_add_f64 v[129:130], v[61:62], -v[12:13]
	v_add_f64 v[131:132], v[4:5], v[8:9]
	v_fma_f64 v[0:1], v[0:1], s[8:9], v[2:3]
	v_add_f64 v[135:136], v[4:5], -v[8:9]
	v_add_f64 v[133:134], v[6:7], v[0:1]
	v_add_f64 v[137:138], v[6:7], -v[0:1]
	v_mov_b32_e32 v0, 36
	v_mul_u32_u24_sdwa v0, v60, v0 dst_sel:DWORD dst_unused:UNUSED_PAD src0_sel:WORD_0 src1_sel:DWORD
	v_add_lshl_u32 v210, v0, v55, 4
	v_mad_u16 v0, v63, 36, v139
	ds_write_b128 v210, v[91:94]
	ds_write_b128 v210, v[95:98] offset:288
	ds_write_b128 v210, v[107:110] offset:96
	;; [unrolled: 1-line block ×5, first 2 shown]
	v_lshlrev_b32_sdwa v209, v89, v0 dst_sel:DWORD dst_unused:UNUSED_PAD src0_sel:DWORD src1_sel:WORD_0
	v_mul_lo_u16 v0, v54, 57
	ds_write_b128 v209, v[99:102]
	ds_write_b128 v209, v[123:126] offset:96
	ds_write_b128 v209, v[131:134] offset:192
	ds_write_b128 v209, v[103:106] offset:288
	ds_write_b128 v209, v[127:130] offset:384
	ds_write_b128 v209, v[135:138] offset:480
	v_lshrrev_b16 v136, 11, v0
	s_waitcnt lgkmcnt(0)
	s_barrier
	buffer_gl0_inv
	v_mov_b32_e32 v96, 0xe38f
	v_mul_lo_u16 v0, v136, 36
	v_mul_u32_u24_sdwa v97, v90, v96 dst_sel:DWORD dst_unused:UNUSED_PAD src0_sel:WORD_0 src1_sel:DWORD
	v_sub_nc_u16 v0, v88, v0
	v_lshrrev_b32_e32 v170, 21, v97
	v_and_b32_e32 v137, 0xff, v0
	v_lshrrev_b32_e32 v199, 23, v97
	v_mul_lo_u16 v10, v170, 36
	v_mad_u64_u32 v[0:1], null, v137, 48, s[10:11]
	s_clause 0x1
	global_load_dwordx4 v[52:55], v[0:1], off offset:480
	global_load_dwordx4 v[60:63], v[0:1], off offset:496
	ds_read_b128 v[91:94], v200 offset:9216
	ds_read_b128 v[98:101], v200 offset:12288
	v_sub_nc_u16 v171, v90, v10
	v_mul_lo_u16 v10, v171, 48
	v_and_b32_e32 v10, 0xffff, v10
	v_add_co_u32 v10, s14, s10, v10
	v_add_co_ci_u32_e64 v11, null, s11, 0, s14
	s_waitcnt vmcnt(1) lgkmcnt(1)
	v_mul_f64 v[2:3], v[93:94], v[54:55]
	v_mul_f64 v[4:5], v[91:92], v[54:55]
	v_fma_f64 v[2:3], v[91:92], v[52:53], -v[2:3]
	v_fma_f64 v[4:5], v[93:94], v[52:53], v[4:5]
	ds_read_b128 v[91:94], v200 offset:18432
	ds_read_b128 v[104:107], v200 offset:15360
	s_clause 0x1
	global_load_dwordx4 v[112:115], v[0:1], off offset:512
	global_load_dwordx4 v[108:111], v[10:11], off offset:480
	s_waitcnt vmcnt(2) lgkmcnt(1)
	v_mul_f64 v[6:7], v[93:94], v[62:63]
	v_mul_f64 v[8:9], v[91:92], v[62:63]
	v_fma_f64 v[6:7], v[91:92], v[60:61], -v[6:7]
	v_fma_f64 v[8:9], v[93:94], v[60:61], v[8:9]
	ds_read_b128 v[91:94], v200 offset:27648
	ds_read_b128 v[116:119], v200 offset:30720
	s_waitcnt vmcnt(1) lgkmcnt(1)
	v_mul_f64 v[0:1], v[93:94], v[114:115]
	v_mul_f64 v[12:13], v[91:92], v[114:115]
	s_waitcnt vmcnt(0)
	v_mul_f64 v[14:15], v[100:101], v[110:111]
	v_fma_f64 v[0:1], v[91:92], v[112:113], -v[0:1]
	v_mul_f64 v[91:92], v[98:99], v[110:111]
	v_fma_f64 v[12:13], v[93:94], v[112:113], v[12:13]
	v_fma_f64 v[14:15], v[98:99], v[108:109], -v[14:15]
	v_add_f64 v[0:1], v[2:3], -v[0:1]
	v_fma_f64 v[98:99], v[100:101], v[108:109], v[91:92]
	s_clause 0x1
	global_load_dwordx4 v[100:103], v[10:11], off offset:496
	global_load_dwordx4 v[92:95], v[10:11], off offset:512
	ds_read_b128 v[120:123], v200 offset:21504
	ds_read_b128 v[128:131], v200 offset:24576
	v_add_co_u32 v91, null, 0x180, v201
	v_add_f64 v[12:13], v[4:5], -v[12:13]
	v_mul_u32_u24_sdwa v96, v91, v96 dst_sel:DWORD dst_unused:UNUSED_PAD src0_sel:WORD_0 src1_sel:DWORD
	v_lshrrev_b32_e32 v172, 21, v96
	v_lshrrev_b32_e32 v216, 23, v96
	s_waitcnt vmcnt(1) lgkmcnt(1)
	v_mul_f64 v[10:11], v[122:123], v[102:103]
	v_fma_f64 v[10:11], v[120:121], v[100:101], -v[10:11]
	v_mul_f64 v[120:121], v[120:121], v[102:103]
	v_fma_f64 v[148:149], v[122:123], v[100:101], v[120:121]
	s_waitcnt vmcnt(0)
	v_mul_f64 v[120:121], v[118:119], v[94:95]
	v_fma_f64 v[150:151], v[116:117], v[92:93], -v[120:121]
	v_mul_f64 v[116:117], v[116:117], v[94:95]
	v_fma_f64 v[152:153], v[118:119], v[92:93], v[116:117]
	v_mul_lo_u16 v116, v172, 36
	v_sub_nc_u16 v173, v91, v116
	v_mul_lo_u16 v116, v173, 48
	v_and_b32_e32 v116, 0xffff, v116
	v_add_co_u32 v116, s14, s10, v116
	v_add_co_ci_u32_e64 v117, null, s11, 0, s14
	s_clause 0x1
	global_load_dwordx4 v[132:135], v[116:117], off offset:480
	global_load_dwordx4 v[124:127], v[116:117], off offset:496
	s_waitcnt vmcnt(1)
	v_mul_f64 v[118:119], v[106:107], v[134:135]
	v_fma_f64 v[154:155], v[104:105], v[132:133], -v[118:119]
	global_load_dwordx4 v[116:119], v[116:117], off offset:512
	v_mul_f64 v[104:105], v[104:105], v[134:135]
	v_fma_f64 v[156:157], v[106:107], v[132:133], v[104:105]
	s_waitcnt vmcnt(1) lgkmcnt(0)
	v_mul_f64 v[104:105], v[130:131], v[126:127]
	v_fma_f64 v[158:159], v[128:129], v[124:125], -v[104:105]
	v_mul_f64 v[104:105], v[128:129], v[126:127]
	v_fma_f64 v[160:161], v[130:131], v[124:125], v[104:105]
	ds_read_b128 v[104:107], v200 offset:33792
	ds_read_b128 v[120:123], v200
	s_waitcnt lgkmcnt(0)
	v_add_f64 v[6:7], v[120:121], -v[6:7]
	v_add_f64 v[8:9], v[122:123], -v[8:9]
	v_fma_f64 v[166:167], v[120:121], 2.0, -v[6:7]
	v_fma_f64 v[168:169], v[122:123], 2.0, -v[8:9]
	s_waitcnt vmcnt(0)
	v_mul_f64 v[128:129], v[106:107], v[118:119]
	v_fma_f64 v[162:163], v[104:105], v[116:117], -v[128:129]
	v_mul_f64 v[104:105], v[104:105], v[118:119]
	v_fma_f64 v[164:165], v[106:107], v[116:117], v[104:105]
	v_add_f64 v[104:105], v[6:7], -v[12:13]
	v_add_f64 v[106:107], v[8:9], v[0:1]
	v_fma_f64 v[0:1], v[2:3], 2.0, -v[0:1]
	v_fma_f64 v[2:3], v[4:5], 2.0, -v[12:13]
	;; [unrolled: 1-line block ×3, first 2 shown]
	v_mov_b32_e32 v6, 0x90
	v_fma_f64 v[122:123], v[8:9], 2.0, -v[106:107]
	v_add_f64 v[8:9], v[14:15], -v[150:151]
	v_mul_u32_u24_sdwa v6, v136, v6 dst_sel:DWORD dst_unused:UNUSED_PAD src0_sel:WORD_0 src1_sel:DWORD
	v_add_lshl_u32 v208, v6, v137, 4
	ds_read_b128 v[128:131], v200 offset:3072
	ds_read_b128 v[136:139], v200 offset:6144
	s_waitcnt lgkmcnt(0)
	s_barrier
	buffer_gl0_inv
	ds_write_b128 v208, v[104:107] offset:1728
	ds_write_b128 v208, v[120:123] offset:576
	v_add_f64 v[104:105], v[166:167], -v[0:1]
	v_add_f64 v[106:107], v[168:169], -v[2:3]
	v_fma_f64 v[12:13], v[14:15], 2.0, -v[8:9]
	v_add_f64 v[0:1], v[128:129], -v[10:11]
	v_add_f64 v[2:3], v[130:131], -v[148:149]
	;; [unrolled: 1-line block ×3, first 2 shown]
	v_fma_f64 v[120:121], v[166:167], 2.0, -v[104:105]
	v_fma_f64 v[122:123], v[168:169], 2.0, -v[106:107]
	ds_write_b128 v208, v[104:107] offset:1152
	ds_write_b128 v208, v[120:123]
	v_fma_f64 v[4:5], v[128:129], 2.0, -v[0:1]
	v_fma_f64 v[6:7], v[130:131], 2.0, -v[2:3]
	;; [unrolled: 1-line block ×3, first 2 shown]
	v_add_f64 v[104:105], v[4:5], -v[12:13]
	v_add_f64 v[106:107], v[6:7], -v[14:15]
	v_fma_f64 v[120:121], v[4:5], 2.0, -v[104:105]
	v_mad_u16 v4, 0x90, v170, v171
	v_fma_f64 v[122:123], v[6:7], 2.0, -v[106:107]
	v_lshlrev_b32_sdwa v212, v89, v4 dst_sel:DWORD dst_unused:UNUSED_PAD src0_sel:DWORD src1_sel:WORD_0
	ds_write_b128 v212, v[120:123]
	v_add_f64 v[120:121], v[0:1], -v[10:11]
	v_add_f64 v[122:123], v[2:3], v[8:9]
	v_add_f64 v[8:9], v[154:155], -v[162:163]
	v_add_f64 v[10:11], v[156:157], -v[164:165]
	v_fma_f64 v[128:129], v[0:1], 2.0, -v[120:121]
	v_fma_f64 v[130:131], v[2:3], 2.0, -v[122:123]
	v_add_f64 v[0:1], v[136:137], -v[158:159]
	v_add_f64 v[2:3], v[138:139], -v[160:161]
	v_fma_f64 v[12:13], v[154:155], 2.0, -v[8:9]
	v_fma_f64 v[14:15], v[156:157], 2.0, -v[10:11]
	ds_write_b128 v212, v[128:131] offset:576
	ds_write_b128 v212, v[104:107] offset:1152
	;; [unrolled: 1-line block ×3, first 2 shown]
	v_fma_f64 v[4:5], v[136:137], 2.0, -v[0:1]
	v_fma_f64 v[6:7], v[138:139], 2.0, -v[2:3]
	v_add_f64 v[104:105], v[4:5], -v[12:13]
	v_add_f64 v[106:107], v[6:7], -v[14:15]
	v_fma_f64 v[120:121], v[4:5], 2.0, -v[104:105]
	v_fma_f64 v[122:123], v[6:7], 2.0, -v[106:107]
	v_mad_u16 v4, 0x90, v172, v173
	v_lshlrev_b32_sdwa v211, v89, v4 dst_sel:DWORD dst_unused:UNUSED_PAD src0_sel:DWORD src1_sel:WORD_0
	ds_write_b128 v211, v[120:123]
	v_add_f64 v[120:121], v[0:1], -v[10:11]
	v_add_f64 v[122:123], v[2:3], v[8:9]
	v_fma_f64 v[128:129], v[0:1], 2.0, -v[120:121]
	v_mul_lo_u16 v0, 0x90, v199
	v_fma_f64 v[130:131], v[2:3], 2.0, -v[122:123]
	ds_write_b128 v211, v[128:131] offset:576
	ds_write_b128 v211, v[104:107] offset:1152
	;; [unrolled: 1-line block ×3, first 2 shown]
	v_sub_nc_u16 v215, v90, v0
	v_add_nc_u32_e32 v0, 0xffffff70, v201
	s_waitcnt lgkmcnt(0)
	s_barrier
	buffer_gl0_inv
	v_mul_lo_u16 v90, 0x90, v216
	v_cndmask_b32_e32 v205, v0, v201, vcc_lo
	v_sub_nc_u16 v217, v91, v90
	v_mul_i32_i24_e32 v0, 48, v205
	v_mul_hi_i32_i24_e32 v1, 48, v205
	v_mul_lo_u16 v90, v217, 48
	v_add_co_u32 v6, vcc_lo, s10, v0
	v_mul_lo_u16 v0, v215, 48
	v_add_co_ci_u32_e32 v7, vcc_lo, s11, v1, vcc_lo
	v_and_b32_e32 v90, 0xffff, v90
	v_and_b32_e32 v2, 0xffff, v0
	v_add_co_u32 v0, vcc_lo, 0x800, v6
	v_add_co_ci_u32_e32 v1, vcc_lo, 0, v7, vcc_lo
	v_add_co_u32 v14, s14, s10, v2
	v_add_co_ci_u32_e64 v15, null, s11, 0, s14
	global_load_dwordx4 v[172:175], v[0:1], off offset:160
	v_add_co_u32 v2, vcc_lo, 0x8a0, v14
	v_add_co_ci_u32_e32 v3, vcc_lo, 0, v15, vcc_lo
	v_add_co_u32 v6, vcc_lo, 0x8a0, v6
	v_add_co_ci_u32_e32 v7, vcc_lo, 0, v7, vcc_lo
	ds_read_b128 v[104:107], v200 offset:9216
	ds_read_b128 v[120:123], v200 offset:12288
	s_clause 0x2
	global_load_dwordx4 v[160:163], v[2:3], off offset:16
	global_load_dwordx4 v[168:171], v[6:7], off offset:16
	;; [unrolled: 1-line block ×3, first 2 shown]
	v_add_co_u32 v14, vcc_lo, 0x800, v14
	v_add_co_ci_u32_e32 v15, vcc_lo, 0, v15, vcc_lo
	s_waitcnt vmcnt(3) lgkmcnt(1)
	v_mul_f64 v[0:1], v[106:107], v[174:175]
	v_mul_f64 v[4:5], v[104:105], v[174:175]
	v_fma_f64 v[0:1], v[104:105], v[172:173], -v[0:1]
	v_fma_f64 v[4:5], v[106:107], v[172:173], v[4:5]
	ds_read_b128 v[104:107], v200 offset:18432
	ds_read_b128 v[128:131], v200 offset:15360
	s_waitcnt vmcnt(1) lgkmcnt(1)
	v_mul_f64 v[6:7], v[106:107], v[170:171]
	v_mul_f64 v[8:9], v[104:105], v[170:171]
	v_fma_f64 v[6:7], v[104:105], v[168:169], -v[6:7]
	v_fma_f64 v[8:9], v[106:107], v[168:169], v[8:9]
	ds_read_b128 v[104:107], v200 offset:27648
	ds_read_b128 v[136:139], v200 offset:30720
	s_clause 0x1
	global_load_dwordx4 v[180:183], v[14:15], off offset:160
	global_load_dwordx4 v[176:179], v[2:3], off offset:32
	s_waitcnt vmcnt(2) lgkmcnt(1)
	v_mul_f64 v[10:11], v[106:107], v[166:167]
	v_mul_f64 v[12:13], v[104:105], v[166:167]
	v_fma_f64 v[10:11], v[104:105], v[164:165], -v[10:11]
	v_fma_f64 v[12:13], v[106:107], v[164:165], v[12:13]
	v_add_f64 v[10:11], v[0:1], -v[10:11]
	v_add_f64 v[12:13], v[4:5], -v[12:13]
	v_fma_f64 v[0:1], v[0:1], 2.0, -v[10:11]
	v_fma_f64 v[4:5], v[4:5], 2.0, -v[12:13]
	s_waitcnt vmcnt(1)
	v_mul_f64 v[2:3], v[122:123], v[182:183]
	v_mul_f64 v[14:15], v[120:121], v[182:183]
	v_fma_f64 v[2:3], v[120:121], v[180:181], -v[2:3]
	v_fma_f64 v[14:15], v[122:123], v[180:181], v[14:15]
	ds_read_b128 v[104:107], v200 offset:21504
	ds_read_b128 v[120:123], v200 offset:24576
	s_waitcnt lgkmcnt(1)
	v_mul_f64 v[97:98], v[106:107], v[162:163]
	v_fma_f64 v[148:149], v[104:105], v[160:161], -v[97:98]
	v_mul_f64 v[97:98], v[104:105], v[162:163]
	v_fma_f64 v[150:151], v[106:107], v[160:161], v[97:98]
	s_waitcnt vmcnt(0)
	v_mul_f64 v[97:98], v[138:139], v[178:179]
	v_fma_f64 v[152:153], v[136:137], v[176:177], -v[97:98]
	v_mul_f64 v[97:98], v[136:137], v[178:179]
	v_fma_f64 v[136:137], v[138:139], v[176:177], v[97:98]
	v_add_co_u32 v98, s14, s10, v90
	v_add_co_ci_u32_e64 v99, null, s11, 0, s14
	v_add_co_u32 v90, vcc_lo, 0x800, v98
	v_add_co_ci_u32_e32 v91, vcc_lo, 0, v99, vcc_lo
	global_load_dwordx4 v[188:191], v[90:91], off offset:160
	s_waitcnt vmcnt(0)
	v_mul_f64 v[96:97], v[128:129], v[190:191]
	v_mul_f64 v[90:91], v[130:131], v[190:191]
	v_fma_f64 v[138:139], v[130:131], v[188:189], v[96:97]
	v_add_co_u32 v96, vcc_lo, 0x8a0, v98
	v_add_co_ci_u32_e32 v97, vcc_lo, 0, v99, vcc_lo
	s_clause 0x1
	global_load_dwordx4 v[192:195], v[96:97], off offset:16
	global_load_dwordx4 v[184:187], v[96:97], off offset:32
	v_fma_f64 v[90:91], v[128:129], v[188:189], -v[90:91]
	v_cmp_lt_u16_e32 vcc_lo, 0x8f, v88
	s_waitcnt vmcnt(1) lgkmcnt(0)
	v_mul_f64 v[96:97], v[122:123], v[194:195]
	v_fma_f64 v[154:155], v[120:121], v[192:193], -v[96:97]
	v_mul_f64 v[96:97], v[120:121], v[194:195]
	v_fma_f64 v[156:157], v[122:123], v[192:193], v[96:97]
	ds_read_b128 v[96:99], v200 offset:33792
	ds_read_b128 v[104:107], v200
	s_waitcnt vmcnt(0) lgkmcnt(1)
	v_mul_f64 v[120:121], v[98:99], v[186:187]
	s_waitcnt lgkmcnt(0)
	v_add_f64 v[6:7], v[104:105], -v[6:7]
	v_add_f64 v[8:9], v[106:107], -v[8:9]
	v_fma_f64 v[158:159], v[96:97], v[184:185], -v[120:121]
	v_mul_f64 v[96:97], v[96:97], v[186:187]
	v_fma_f64 v[206:207], v[104:105], 2.0, -v[6:7]
	v_fma_f64 v[213:214], v[106:107], 2.0, -v[8:9]
	ds_read_b128 v[120:123], v200 offset:3072
	ds_read_b128 v[128:131], v200 offset:6144
	s_waitcnt lgkmcnt(0)
	s_barrier
	buffer_gl0_inv
	v_fma_f64 v[197:198], v[98:99], v[184:185], v[96:97]
	v_add_f64 v[96:97], v[6:7], -v[12:13]
	v_add_f64 v[98:99], v[8:9], v[10:11]
	v_add_f64 v[10:11], v[2:3], -v[152:153]
	v_add_f64 v[12:13], v[14:15], -v[136:137]
	v_fma_f64 v[104:105], v[6:7], 2.0, -v[96:97]
	v_fma_f64 v[106:107], v[8:9], 2.0, -v[98:99]
	v_cndmask_b32_e64 v6, 0, 0x240, vcc_lo
	v_fma_f64 v[2:3], v[2:3], 2.0, -v[10:11]
	v_fma_f64 v[14:15], v[14:15], 2.0, -v[12:13]
	v_add_lshl_u32 v205, v205, v6, 4
	ds_write_b128 v205, v[96:99] offset:6912
	ds_write_b128 v205, v[104:107] offset:2304
	v_add_f64 v[96:97], v[206:207], -v[0:1]
	v_add_f64 v[98:99], v[213:214], -v[4:5]
	;; [unrolled: 1-line block ×4, first 2 shown]
	v_fma_f64 v[104:105], v[206:207], 2.0, -v[96:97]
	v_fma_f64 v[106:107], v[213:214], 2.0, -v[98:99]
	;; [unrolled: 1-line block ×4, first 2 shown]
	ds_write_b128 v205, v[96:99] offset:4608
	ds_write_b128 v205, v[104:107]
	v_add_f64 v[96:97], v[6:7], -v[2:3]
	v_add_f64 v[98:99], v[8:9], -v[14:15]
	v_mad_u16 v2, 0x240, v199, v215
	v_lshlrev_b32_sdwa v206, v89, v2 dst_sel:DWORD dst_unused:UNUSED_PAD src0_sel:DWORD src1_sel:WORD_0
	v_add_f64 v[2:3], v[130:131], -v[156:157]
	v_fma_f64 v[104:105], v[6:7], 2.0, -v[96:97]
	v_fma_f64 v[106:107], v[8:9], 2.0, -v[98:99]
	v_add_f64 v[8:9], v[90:91], -v[158:159]
	v_fma_f64 v[6:7], v[130:131], 2.0, -v[2:3]
	ds_write_b128 v206, v[104:107]
	v_add_f64 v[104:105], v[0:1], -v[12:13]
	v_add_f64 v[106:107], v[4:5], v[10:11]
	v_add_f64 v[10:11], v[138:139], -v[197:198]
	v_fma_f64 v[12:13], v[90:91], 2.0, -v[8:9]
	v_add_f64 v[90:91], v[2:3], v[8:9]
	v_fma_f64 v[120:121], v[0:1], 2.0, -v[104:105]
	v_add_f64 v[0:1], v[128:129], -v[154:155]
	v_fma_f64 v[122:123], v[4:5], 2.0, -v[106:107]
	v_fma_f64 v[14:15], v[138:139], 2.0, -v[10:11]
	ds_write_b128 v206, v[120:123] offset:2304
	ds_write_b128 v206, v[96:99] offset:4608
	;; [unrolled: 1-line block ×3, first 2 shown]
	v_fma_f64 v[4:5], v[128:129], 2.0, -v[0:1]
	v_add_f64 v[98:99], v[6:7], -v[14:15]
	v_add_f64 v[96:97], v[4:5], -v[12:13]
	v_fma_f64 v[106:107], v[6:7], 2.0, -v[98:99]
	v_fma_f64 v[104:105], v[4:5], 2.0, -v[96:97]
	v_mad_u16 v4, 0x240, v216, v217
	v_lshlrev_b32_sdwa v207, v89, v4 dst_sel:DWORD dst_unused:UNUSED_PAD src0_sel:DWORD src1_sel:WORD_0
	v_add_f64 v[88:89], v[0:1], -v[10:11]
	ds_write_b128 v207, v[104:107]
	v_fma_f64 v[106:107], v[2:3], 2.0, -v[90:91]
	v_fma_f64 v[104:105], v[0:1], 2.0, -v[88:89]
	v_mad_u64_u32 v[0:1], null, v201, 48, s[10:11]
	ds_write_b128 v207, v[104:107] offset:2304
	ds_write_b128 v207, v[96:99] offset:4608
	;; [unrolled: 1-line block ×3, first 2 shown]
	v_add_co_u32 v2, vcc_lo, 0x2000, v0
	v_add_co_ci_u32_e32 v3, vcc_lo, 0, v1, vcc_lo
	s_waitcnt lgkmcnt(0)
	s_barrier
	buffer_gl0_inv
	global_load_dwordx4 v[120:123], v[2:3], off offset:928
	ds_read_b128 v[96:99], v200 offset:9216
	ds_read_b128 v[148:151], v200 offset:12288
	v_add_co_u32 v4, vcc_lo, 0x47a0, v0
	v_add_co_ci_u32_e32 v5, vcc_lo, 0, v1, vcc_lo
	v_add_co_u32 v8, vcc_lo, 0x23a0, v0
	v_add_co_ci_u32_e32 v9, vcc_lo, 0, v1, vcc_lo
	global_load_dwordx4 v[88:91], v[4:5], off offset:16
	s_waitcnt vmcnt(1) lgkmcnt(1)
	v_mul_f64 v[2:3], v[98:99], v[122:123]
	v_mul_f64 v[6:7], v[96:97], v[122:123]
	v_fma_f64 v[2:3], v[96:97], v[120:121], -v[2:3]
	v_fma_f64 v[6:7], v[98:99], v[120:121], v[6:7]
	s_clause 0x1
	global_load_dwordx4 v[104:107], v[8:9], off offset:16
	global_load_dwordx4 v[96:99], v[8:9], off offset:32
	ds_read_b128 v[128:131], v200 offset:18432
	ds_read_b128 v[156:159], v200 offset:15360
	s_waitcnt vmcnt(1) lgkmcnt(1)
	v_mul_f64 v[8:9], v[130:131], v[106:107]
	v_mul_f64 v[10:11], v[128:129], v[106:107]
	v_fma_f64 v[8:9], v[128:129], v[104:105], -v[8:9]
	v_fma_f64 v[10:11], v[130:131], v[104:105], v[10:11]
	ds_read_b128 v[128:131], v200 offset:27648
	ds_read_b128 v[152:155], v200 offset:30720
	s_waitcnt vmcnt(0) lgkmcnt(1)
	v_mul_f64 v[12:13], v[130:131], v[98:99]
	v_mul_f64 v[14:15], v[128:129], v[98:99]
	v_fma_f64 v[12:13], v[128:129], v[96:97], -v[12:13]
	v_add_co_u32 v128, vcc_lo, 0x4000, v0
	v_add_co_ci_u32_e32 v129, vcc_lo, 0, v1, vcc_lo
	v_fma_f64 v[14:15], v[130:131], v[96:97], v[14:15]
	s_clause 0x1
	global_load_dwordx4 v[136:139], v[128:129], off offset:1952
	global_load_dwordx4 v[128:131], v[4:5], off offset:32
	v_add_f64 v[12:13], v[2:3], -v[12:13]
	v_add_f64 v[14:15], v[6:7], -v[14:15]
	s_waitcnt vmcnt(1)
	v_mul_f64 v[4:5], v[150:151], v[138:139]
	v_fma_f64 v[4:5], v[148:149], v[136:137], -v[4:5]
	v_mul_f64 v[148:149], v[148:149], v[138:139]
	v_fma_f64 v[197:198], v[150:151], v[136:137], v[148:149]
	ds_read_b128 v[148:151], v200 offset:21504
	ds_read_b128 v[213:216], v200 offset:24576
	s_waitcnt lgkmcnt(1)
	v_mul_f64 v[217:218], v[150:151], v[90:91]
	v_fma_f64 v[225:226], v[148:149], v[88:89], -v[217:218]
	v_mul_f64 v[148:149], v[148:149], v[90:91]
	v_fma_f64 v[227:228], v[150:151], v[88:89], v[148:149]
	s_waitcnt vmcnt(0)
	v_mul_f64 v[148:149], v[154:155], v[130:131]
	v_fma_f64 v[229:230], v[152:153], v[128:129], -v[148:149]
	v_mul_f64 v[148:149], v[152:153], v[130:131]
	v_add_f64 v[229:230], v[4:5], -v[229:230]
	v_fma_f64 v[231:232], v[154:155], v[128:129], v[148:149]
	v_add_co_u32 v148, vcc_lo, 0x6800, v0
	v_add_co_ci_u32_e32 v149, vcc_lo, 0, v1, vcc_lo
	v_add_co_u32 v0, vcc_lo, 0x6ba0, v0
	v_add_co_ci_u32_e32 v1, vcc_lo, 0, v1, vcc_lo
	global_load_dwordx4 v[152:155], v[148:149], off offset:928
	v_add_f64 v[231:232], v[197:198], -v[231:232]
	s_waitcnt vmcnt(0)
	v_mul_f64 v[148:149], v[158:159], v[154:155]
	v_fma_f64 v[233:234], v[156:157], v[152:153], -v[148:149]
	v_mul_f64 v[148:149], v[156:157], v[154:155]
	v_fma_f64 v[235:236], v[158:159], v[152:153], v[148:149]
	s_clause 0x1
	global_load_dwordx4 v[156:159], v[0:1], off offset:16
	global_load_dwordx4 v[148:151], v[0:1], off offset:32
	s_waitcnt vmcnt(1) lgkmcnt(0)
	v_mul_f64 v[0:1], v[215:216], v[158:159]
	v_fma_f64 v[0:1], v[213:214], v[156:157], -v[0:1]
	v_mul_f64 v[213:214], v[213:214], v[158:159]
	v_fma_f64 v[237:238], v[215:216], v[156:157], v[213:214]
	ds_read_b128 v[213:216], v200 offset:33792
	ds_read_b128 v[217:220], v200
	s_waitcnt vmcnt(0) lgkmcnt(1)
	v_mul_f64 v[221:222], v[215:216], v[150:151]
	s_waitcnt lgkmcnt(0)
	v_add_f64 v[8:9], v[217:218], -v[8:9]
	v_add_f64 v[10:11], v[219:220], -v[10:11]
	v_fma_f64 v[239:240], v[213:214], v[148:149], -v[221:222]
	v_mul_f64 v[213:214], v[213:214], v[150:151]
	v_fma_f64 v[243:244], v[217:218], 2.0, -v[8:9]
	v_fma_f64 v[245:246], v[219:220], 2.0, -v[10:11]
	v_add_f64 v[239:240], v[233:234], -v[239:240]
	v_fma_f64 v[241:242], v[215:216], v[148:149], v[213:214]
	v_add_f64 v[213:214], v[8:9], -v[14:15]
	v_add_f64 v[215:216], v[10:11], v[12:13]
	v_add_f64 v[241:242], v[235:236], -v[241:242]
	v_fma_f64 v[217:218], v[8:9], 2.0, -v[213:214]
	ds_write_b128 v200, v[213:216] offset:27648
	v_fma_f64 v[219:220], v[10:11], 2.0, -v[215:216]
	ds_read_b128 v[213:216], v200 offset:3072
	ds_read_b128 v[221:224], v200 offset:6144
	s_waitcnt lgkmcnt(1)
	v_add_f64 v[8:9], v[213:214], -v[225:226]
	v_add_f64 v[10:11], v[215:216], -v[227:228]
	s_waitcnt lgkmcnt(0)
	v_add_f64 v[0:1], v[221:222], -v[0:1]
	v_fma_f64 v[247:248], v[213:214], 2.0, -v[8:9]
	v_fma_f64 v[249:250], v[215:216], 2.0, -v[10:11]
	v_add_f64 v[213:214], v[8:9], -v[231:232]
	v_add_f64 v[215:216], v[10:11], v[229:230]
	v_fma_f64 v[225:226], v[8:9], 2.0, -v[213:214]
	ds_write_b128 v200, v[213:216] offset:30720
	v_add_f64 v[8:9], v[223:224], -v[237:238]
	v_add_f64 v[213:214], v[0:1], -v[241:242]
	v_fma_f64 v[227:228], v[10:11], 2.0, -v[215:216]
	v_fma_f64 v[10:11], v[221:222], 2.0, -v[0:1]
	v_add_f64 v[215:216], v[8:9], v[239:240]
	v_fma_f64 v[221:222], v[0:1], 2.0, -v[213:214]
	v_fma_f64 v[0:1], v[2:3], 2.0, -v[12:13]
	;; [unrolled: 1-line block ×4, first 2 shown]
	ds_write_b128 v200, v[213:216] offset:33792
	ds_write_b128 v200, v[217:220] offset:9216
	v_fma_f64 v[223:224], v[8:9], 2.0, -v[215:216]
	v_add_f64 v[213:214], v[243:244], -v[0:1]
	v_add_f64 v[215:216], v[245:246], -v[2:3]
	v_fma_f64 v[0:1], v[4:5], 2.0, -v[229:230]
	v_fma_f64 v[2:3], v[197:198], 2.0, -v[231:232]
	ds_write_b128 v200, v[213:216] offset:18432
	ds_write_b128 v200, v[225:228] offset:12288
	v_fma_f64 v[217:218], v[243:244], 2.0, -v[213:214]
	v_fma_f64 v[219:220], v[245:246], 2.0, -v[215:216]
	v_add_f64 v[213:214], v[247:248], -v[0:1]
	v_add_f64 v[215:216], v[249:250], -v[2:3]
	v_fma_f64 v[0:1], v[233:234], 2.0, -v[239:240]
	v_fma_f64 v[2:3], v[235:236], 2.0, -v[241:242]
	ds_write_b128 v200, v[213:216] offset:21504
	ds_write_b128 v200, v[221:224] offset:15360
	v_fma_f64 v[225:226], v[247:248], 2.0, -v[213:214]
	v_fma_f64 v[227:228], v[249:250], 2.0, -v[215:216]
	v_add_f64 v[213:214], v[10:11], -v[0:1]
	v_add_f64 v[215:216], v[237:238], -v[2:3]
	v_fma_f64 v[221:222], v[10:11], 2.0, -v[213:214]
	v_fma_f64 v[223:224], v[237:238], 2.0, -v[215:216]
	ds_write_b128 v200, v[213:216] offset:24576
	ds_write_b128 v200, v[217:220]
	ds_write_b128 v200, v[225:228] offset:3072
	ds_write_b128 v200, v[221:224] offset:6144
	s_waitcnt lgkmcnt(0)
	s_barrier
	buffer_gl0_inv
	s_clause 0x1
	global_load_dwordx4 v[213:216], v202, s[12:13]
	global_load_dwordx4 v[217:220], v200, s[12:13]
	ds_read_b128 v[221:224], v200
	ds_read_b128 v[225:228], v200 offset:33792
	v_add_co_u32 v202, s10, s12, v200
	v_add_co_ci_u32_e64 v253, null, s13, 0, s10
	s_waitcnt vmcnt(0) lgkmcnt(1)
	v_mul_f64 v[0:1], v[223:224], v[219:220]
	v_mul_f64 v[2:3], v[221:222], v[219:220]
	v_fma_f64 v[219:220], v[221:222], v[217:218], -v[0:1]
	v_add_co_u32 v0, vcc_lo, 0x1800, v202
	v_add_co_ci_u32_e32 v1, vcc_lo, 0, v253, vcc_lo
	s_clause 0x1
	global_load_dwordx4 v[229:232], v[0:1], off
	global_load_dwordx4 v[233:236], v196, s[12:13]
	ds_read_b128 v[237:240], v200 offset:6144
	ds_read_b128 v[241:244], v200 offset:3072
	v_fma_f64 v[221:222], v[223:224], v[217:218], v[2:3]
	s_waitcnt vmcnt(1) lgkmcnt(1)
	v_mul_f64 v[0:1], v[239:240], v[231:232]
	v_mul_f64 v[2:3], v[237:238], v[231:232]
	v_fma_f64 v[237:238], v[237:238], v[229:230], -v[0:1]
	v_fma_f64 v[239:240], v[239:240], v[229:230], v[2:3]
	ds_read_b128 v[229:232], v200 offset:12288
	ds_read_b128 v[245:248], v200 offset:9216
	s_waitcnt lgkmcnt(1)
	v_mul_f64 v[0:1], v[231:232], v[215:216]
	v_mul_f64 v[2:3], v[229:230], v[215:216]
	v_fma_f64 v[215:216], v[229:230], v[213:214], -v[0:1]
	v_add_co_u32 v0, vcc_lo, 0x4800, v202
	v_add_co_ci_u32_e32 v1, vcc_lo, 0, v253, vcc_lo
	v_fma_f64 v[217:218], v[231:232], v[213:214], v[2:3]
	v_add_co_u32 v2, vcc_lo, 0x7800, v202
	v_add_co_ci_u32_e32 v3, vcc_lo, 0, v253, vcc_lo
	s_clause 0x1
	global_load_dwordx4 v[229:232], v[0:1], off
	global_load_dwordx4 v[249:252], v[2:3], off
	ds_read_b128 v[196:199], v200 offset:18432
	ds_read_b128 v[8:11], v200 offset:15360
	s_waitcnt vmcnt(1) lgkmcnt(1)
	v_mul_f64 v[0:1], v[198:199], v[231:232]
	v_mul_f64 v[2:3], v[196:197], v[231:232]
	v_fma_f64 v[196:197], v[196:197], v[229:230], -v[0:1]
	v_fma_f64 v[198:199], v[198:199], v[229:230], v[2:3]
	ds_read_b128 v[229:232], v200 offset:24576
	ds_read_b128 v[4:7], v200 offset:21504
	s_waitcnt lgkmcnt(1)
	v_mul_f64 v[0:1], v[231:232], v[235:236]
	v_mul_f64 v[2:3], v[229:230], v[235:236]
	v_fma_f64 v[229:230], v[229:230], v[233:234], -v[0:1]
	v_fma_f64 v[231:232], v[231:232], v[233:234], v[2:3]
	ds_read_b128 v[233:236], v200 offset:30720
	ds_read_b128 v[12:15], v200 offset:27648
	s_waitcnt vmcnt(0) lgkmcnt(1)
	v_mul_f64 v[0:1], v[235:236], v[251:252]
	v_mul_f64 v[2:3], v[233:234], v[251:252]
	v_fma_f64 v[233:234], v[233:234], v[249:250], -v[0:1]
	v_add_co_u32 v0, vcc_lo, 0x800, v202
	v_add_co_ci_u32_e32 v1, vcc_lo, 0, v253, vcc_lo
	v_fma_f64 v[235:236], v[235:236], v[249:250], v[2:3]
	v_add_co_u32 v2, vcc_lo, 0x2000, v202
	v_add_co_ci_u32_e32 v3, vcc_lo, 0, v253, vcc_lo
	s_clause 0x1
	global_load_dwordx4 v[249:252], v[0:1], off offset:1024
	global_load_dwordx4 v[0:3], v[2:3], off offset:1024
	s_waitcnt vmcnt(1)
	v_mul_f64 v[213:214], v[243:244], v[251:252]
	v_mul_f64 v[223:224], v[241:242], v[251:252]
	v_fma_f64 v[241:242], v[241:242], v[249:250], -v[213:214]
	s_waitcnt vmcnt(0)
	v_mul_f64 v[213:214], v[247:248], v[2:3]
	v_mul_f64 v[2:3], v[245:246], v[2:3]
	v_fma_f64 v[243:244], v[243:244], v[249:250], v[223:224]
	v_fma_f64 v[245:246], v[245:246], v[0:1], -v[213:214]
	v_fma_f64 v[247:248], v[247:248], v[0:1], v[2:3]
	v_add_co_u32 v0, vcc_lo, 0x3800, v202
	v_add_co_ci_u32_e32 v1, vcc_lo, 0, v253, vcc_lo
	v_add_co_u32 v213, vcc_lo, 0x5000, v202
	v_add_co_ci_u32_e32 v214, vcc_lo, 0, v253, vcc_lo
	s_clause 0x1
	global_load_dwordx4 v[0:3], v[0:1], off offset:1024
	global_load_dwordx4 v[249:252], v[213:214], off offset:1024
	s_waitcnt vmcnt(1)
	v_mul_f64 v[213:214], v[10:11], v[2:3]
	v_mul_f64 v[2:3], v[8:9], v[2:3]
	v_fma_f64 v[8:9], v[8:9], v[0:1], -v[213:214]
	v_fma_f64 v[10:11], v[10:11], v[0:1], v[2:3]
	s_waitcnt vmcnt(0)
	v_mul_f64 v[0:1], v[6:7], v[251:252]
	v_mul_f64 v[2:3], v[4:5], v[251:252]
	v_fma_f64 v[0:1], v[4:5], v[249:250], -v[0:1]
	v_add_co_u32 v4, vcc_lo, 0x6800, v202
	v_add_co_ci_u32_e32 v5, vcc_lo, 0, v253, vcc_lo
	v_add_co_u32 v213, vcc_lo, 0x8000, v202
	v_add_co_ci_u32_e32 v214, vcc_lo, 0, v253, vcc_lo
	v_fma_f64 v[2:3], v[6:7], v[249:250], v[2:3]
	s_clause 0x1
	global_load_dwordx4 v[4:7], v[4:5], off offset:1024
	global_load_dwordx4 v[249:252], v[213:214], off offset:1024
	s_waitcnt vmcnt(1) lgkmcnt(0)
	v_mul_f64 v[213:214], v[14:15], v[6:7]
	v_mul_f64 v[6:7], v[12:13], v[6:7]
	v_fma_f64 v[12:13], v[12:13], v[4:5], -v[213:214]
	v_fma_f64 v[14:15], v[14:15], v[4:5], v[6:7]
	s_waitcnt vmcnt(0)
	v_mul_f64 v[4:5], v[227:228], v[251:252]
	v_mul_f64 v[6:7], v[225:226], v[251:252]
	v_fma_f64 v[4:5], v[225:226], v[249:250], -v[4:5]
	v_fma_f64 v[6:7], v[227:228], v[249:250], v[6:7]
	ds_write_b128 v200, v[219:222]
	ds_write_b128 v200, v[237:240] offset:6144
	ds_write_b128 v200, v[215:218] offset:12288
	;; [unrolled: 1-line block ×11, first 2 shown]
	s_waitcnt lgkmcnt(0)
	s_barrier
	buffer_gl0_inv
	ds_read_b128 v[0:3], v200
	ds_read_b128 v[4:7], v200 offset:12288
	ds_read_b128 v[8:11], v200 offset:9216
	;; [unrolled: 1-line block ×5, first 2 shown]
	s_waitcnt lgkmcnt(4)
	v_add_f64 v[217:218], v[0:1], v[4:5]
	v_add_f64 v[219:220], v[2:3], v[6:7]
	s_waitcnt lgkmcnt(1)
	v_add_f64 v[233:234], v[4:5], v[196:197]
	v_add_f64 v[235:236], v[6:7], -v[198:199]
	v_add_f64 v[237:238], v[6:7], v[198:199]
	v_add_f64 v[239:240], v[4:5], -v[196:197]
	v_add_f64 v[241:242], v[217:218], v[196:197]
	v_add_f64 v[243:244], v[219:220], v[198:199]
	ds_read_b128 v[4:7], v200 offset:18432
	ds_read_b128 v[196:199], v200 offset:6144
	;; [unrolled: 1-line block ×6, first 2 shown]
	v_fma_f64 v[233:234], v[233:234], -0.5, v[0:1]
	v_fma_f64 v[237:238], v[237:238], -0.5, v[2:3]
	s_waitcnt lgkmcnt(0)
	s_barrier
	buffer_gl0_inv
	v_add_f64 v[245:246], v[196:197], v[4:5]
	v_add_f64 v[247:248], v[198:199], v[6:7]
	;; [unrolled: 1-line block ×4, first 2 shown]
	v_add_f64 v[4:5], v[4:5], -v[225:226]
	v_add_f64 v[6:7], v[6:7], -v[227:228]
	v_add_f64 v[225:226], v[245:246], v[225:226]
	v_add_f64 v[227:228], v[247:248], v[227:228]
	v_fma_f64 v[245:246], v[249:250], -0.5, v[198:199]
	v_fma_f64 v[247:248], v[251:252], -0.5, v[196:197]
	v_fma_f64 v[251:252], v[239:240], s[6:7], v[237:238]
	v_fma_f64 v[239:240], v[239:240], s[8:9], v[237:238]
	v_add_f64 v[0:1], v[241:242], v[225:226]
	v_add_f64 v[241:242], v[241:242], -v[225:226]
	v_fma_f64 v[196:197], v[4:5], s[6:7], v[245:246]
	v_fma_f64 v[225:226], v[6:7], s[8:9], v[247:248]
	;; [unrolled: 1-line block ×3, first 2 shown]
	v_add_f64 v[2:3], v[243:244], v[227:228]
	v_add_f64 v[243:244], v[243:244], -v[227:228]
	v_fma_f64 v[245:246], v[235:236], s[6:7], v[233:234]
	v_fma_f64 v[6:7], v[6:7], s[6:7], v[247:248]
	v_mul_f64 v[198:199], v[196:197], s[8:9]
	v_mul_f64 v[196:197], v[196:197], 0.5
	v_fma_f64 v[227:228], v[225:226], 0.5, v[198:199]
	v_fma_f64 v[249:250], v[225:226], s[6:7], v[196:197]
	v_fma_f64 v[225:226], v[235:236], s[8:9], v[233:234]
	v_mul_f64 v[233:234], v[4:5], s[8:9]
	v_mul_f64 v[4:5], v[4:5], -0.5
	v_add_f64 v[198:199], v[251:252], v[249:250]
	v_add_f64 v[196:197], v[225:226], v[227:228]
	v_fma_f64 v[237:238], v[6:7], -0.5, v[233:234]
	v_fma_f64 v[4:5], v[6:7], s[6:7], v[4:5]
	v_add_f64 v[225:226], v[225:226], -v[227:228]
	v_add_f64 v[227:228], v[251:252], -v[249:250]
	v_add_f64 v[6:7], v[223:224], v[231:232]
	v_add_f64 v[233:234], v[245:246], v[237:238]
	;; [unrolled: 1-line block ×3, first 2 shown]
	v_add_f64 v[237:238], v[245:246], -v[237:238]
	v_add_f64 v[239:240], v[239:240], -v[4:5]
	ds_write_b128 v204, v[0:3]
	ds_write_b128 v204, v[241:244] offset:48
	ds_write_b128 v204, v[196:199] offset:16
	;; [unrolled: 1-line block ×5, first 2 shown]
	v_add_f64 v[0:1], v[217:218], v[221:222]
	v_add_f64 v[225:226], v[215:216], v[14:15]
	;; [unrolled: 1-line block ×4, first 2 shown]
	v_add_f64 v[198:199], v[221:222], -v[229:230]
	v_add_f64 v[227:228], v[213:214], v[12:13]
	v_add_f64 v[196:197], v[223:224], -v[231:232]
	v_fma_f64 v[219:220], v[6:7], -0.5, v[219:220]
	v_add_f64 v[221:222], v[0:1], v[229:230]
	v_add_f64 v[0:1], v[8:9], v[213:214]
	v_add_f64 v[213:214], v[213:214], -v[12:13]
	v_fma_f64 v[225:226], v[225:226], -0.5, v[10:11]
	v_add_f64 v[223:224], v[2:3], v[231:232]
	v_add_f64 v[2:3], v[10:11], v[215:216]
	v_add_f64 v[215:216], v[215:216], -v[14:15]
	v_fma_f64 v[227:228], v[227:228], -0.5, v[8:9]
	v_fma_f64 v[217:218], v[4:5], -0.5, v[217:218]
	v_add_f64 v[12:13], v[0:1], v[12:13]
	v_fma_f64 v[8:9], v[213:214], s[6:7], v[225:226]
	v_fma_f64 v[213:214], v[213:214], s[8:9], v[225:226]
	v_add_f64 v[14:15], v[2:3], v[14:15]
	v_add_f64 v[0:1], v[221:222], v[12:13]
	v_add_f64 v[4:5], v[221:222], -v[12:13]
	v_mul_f64 v[10:11], v[8:9], s[8:9]
	v_mul_f64 v[8:9], v[8:9], 0.5
	v_fma_f64 v[12:13], v[215:216], s[8:9], v[227:228]
	v_add_f64 v[2:3], v[223:224], v[14:15]
	v_add_f64 v[6:7], v[223:224], -v[14:15]
	v_fma_f64 v[223:224], v[198:199], s[6:7], v[219:220]
	v_fma_f64 v[219:220], v[198:199], s[8:9], v[219:220]
	v_mul_f64 v[198:199], v[213:214], s[8:9]
	v_mul_f64 v[213:214], v[213:214], -0.5
	v_fma_f64 v[14:15], v[12:13], 0.5, v[10:11]
	v_fma_f64 v[221:222], v[12:13], s[6:7], v[8:9]
	v_fma_f64 v[12:13], v[196:197], s[8:9], v[217:218]
	;; [unrolled: 1-line block ×4, first 2 shown]
	v_add_f64 v[10:11], v[223:224], v[221:222]
	v_add_f64 v[8:9], v[12:13], v[14:15]
	v_add_f64 v[12:13], v[12:13], -v[14:15]
	v_add_f64 v[14:15], v[223:224], -v[221:222]
	v_fma_f64 v[215:216], v[196:197], -0.5, v[198:199]
	v_fma_f64 v[221:222], v[196:197], s[6:7], v[213:214]
	v_add_f64 v[196:197], v[217:218], v[215:216]
	v_add_f64 v[198:199], v[219:220], v[221:222]
	v_add_f64 v[213:214], v[217:218], -v[215:216]
	v_add_f64 v[215:216], v[219:220], -v[221:222]
	ds_write_b128 v203, v[0:3]
	ds_write_b128 v203, v[8:11] offset:16
	ds_write_b128 v203, v[196:199] offset:32
	;; [unrolled: 1-line block ×5, first 2 shown]
	s_waitcnt lgkmcnt(0)
	s_barrier
	buffer_gl0_inv
	ds_read_b128 v[0:3], v200 offset:6144
	ds_read_b128 v[4:7], v200 offset:3072
	s_waitcnt lgkmcnt(1)
	v_mul_f64 v[8:9], v[146:147], v[2:3]
	v_fma_f64 v[196:197], v[144:145], v[0:1], v[8:9]
	v_mul_f64 v[0:1], v[146:147], v[0:1]
	v_fma_f64 v[144:145], v[144:145], v[2:3], -v[0:1]
	ds_read_b128 v[0:3], v200 offset:12288
	ds_read_b128 v[8:11], v200 offset:9216
	s_waitcnt lgkmcnt(1)
	v_mul_f64 v[12:13], v[142:143], v[2:3]
	v_fma_f64 v[146:147], v[140:141], v[0:1], v[12:13]
	v_mul_f64 v[0:1], v[142:143], v[0:1]
	v_fma_f64 v[140:141], v[140:141], v[2:3], -v[0:1]
	;; [unrolled: 7-line block ×5, first 2 shown]
	v_mul_f64 v[0:1], v[66:67], v[10:11]
	v_fma_f64 v[70:71], v[64:65], v[8:9], v[0:1]
	v_mul_f64 v[0:1], v[66:67], v[8:9]
	v_fma_f64 v[217:218], v[64:65], v[10:11], -v[0:1]
	v_mul_f64 v[0:1], v[86:87], v[14:15]
	v_add_f64 v[64:65], v[142:143], -v[215:216]
	v_fma_f64 v[219:220], v[84:85], v[12:13], v[0:1]
	v_mul_f64 v[0:1], v[86:87], v[12:13]
	v_fma_f64 v[84:85], v[84:85], v[14:15], -v[0:1]
	v_mul_f64 v[0:1], v[78:79], v[50:51]
	v_fma_f64 v[86:87], v[76:77], v[48:49], v[0:1]
	v_mul_f64 v[0:1], v[78:79], v[48:49]
	v_fma_f64 v[76:77], v[76:77], v[50:51], -v[0:1]
	s_waitcnt lgkmcnt(0)
	v_mul_f64 v[0:1], v[82:83], v[58:59]
	v_fma_f64 v[78:79], v[80:81], v[56:57], v[0:1]
	v_mul_f64 v[0:1], v[82:83], v[56:57]
	v_fma_f64 v[80:81], v[80:81], v[58:59], -v[0:1]
	ds_read_b128 v[0:3], v200 offset:33792
	ds_read_b128 v[8:11], v200
	s_waitcnt lgkmcnt(0)
	s_barrier
	buffer_gl0_inv
	v_mul_f64 v[12:13], v[74:75], v[2:3]
	v_fma_f64 v[82:83], v[72:73], v[0:1], v[12:13]
	v_mul_f64 v[0:1], v[74:75], v[0:1]
	v_add_f64 v[74:75], v[140:141], -v[213:214]
	v_fma_f64 v[72:73], v[72:73], v[2:3], -v[0:1]
	v_add_f64 v[0:1], v[146:147], v[202:203]
	v_add_f64 v[2:3], v[10:11], v[140:141]
	v_fma_f64 v[56:57], v[0:1], -0.5, v[8:9]
	v_add_f64 v[0:1], v[140:141], v[213:214]
	v_add_f64 v[140:141], v[146:147], -v[202:203]
	v_fma_f64 v[58:59], v[0:1], -0.5, v[10:11]
	v_add_f64 v[0:1], v[8:9], v[146:147]
	v_add_f64 v[10:11], v[2:3], v[213:214]
	v_fma_f64 v[146:147], v[140:141], s[6:7], v[58:59]
	v_add_f64 v[8:9], v[0:1], v[202:203]
	v_add_f64 v[0:1], v[196:197], v[142:143]
	;; [unrolled: 1-line block ×6, first 2 shown]
	v_add_f64 v[8:9], v[8:9], -v[12:13]
	v_add_f64 v[12:13], v[142:143], v[215:216]
	v_add_f64 v[2:3], v[10:11], v[14:15]
	v_add_f64 v[10:11], v[10:11], -v[14:15]
	v_add_f64 v[14:15], v[198:199], v[68:69]
	v_add_f64 v[68:69], v[198:199], -v[68:69]
	v_fma_f64 v[142:143], v[12:13], -0.5, v[196:197]
	v_fma_f64 v[66:67], v[14:15], -0.5, v[144:145]
	v_fma_f64 v[48:49], v[68:69], s[8:9], v[142:143]
	v_fma_f64 v[12:13], v[64:65], s[6:7], v[66:67]
	;; [unrolled: 1-line block ×4, first 2 shown]
	v_mul_f64 v[14:15], v[12:13], s[8:9]
	v_mul_f64 v[12:13], v[12:13], 0.5
	v_fma_f64 v[50:51], v[48:49], 0.5, v[14:15]
	v_fma_f64 v[144:145], v[48:49], s[6:7], v[12:13]
	v_fma_f64 v[48:49], v[74:75], s[8:9], v[56:57]
	;; [unrolled: 1-line block ×4, first 2 shown]
	v_mul_f64 v[58:59], v[64:65], s[8:9]
	v_mul_f64 v[64:65], v[64:65], -0.5
	v_add_f64 v[14:15], v[146:147], v[144:145]
	v_add_f64 v[12:13], v[48:49], v[50:51]
	v_add_f64 v[48:49], v[48:49], -v[50:51]
	v_add_f64 v[50:51], v[146:147], -v[144:145]
	v_fma_f64 v[68:69], v[56:57], -0.5, v[58:59]
	v_fma_f64 v[140:141], v[56:57], s[6:7], v[64:65]
	v_add_f64 v[56:57], v[66:67], v[68:69]
	v_add_f64 v[58:59], v[74:75], v[140:141]
	v_add_f64 v[64:65], v[66:67], -v[68:69]
	v_add_f64 v[66:67], v[74:75], -v[140:141]
	ds_write_b128 v210, v[0:3]
	ds_write_b128 v210, v[8:11] offset:288
	ds_write_b128 v210, v[12:15] offset:96
	;; [unrolled: 1-line block ×5, first 2 shown]
	v_add_f64 v[0:1], v[219:220], v[78:79]
	v_add_f64 v[2:3], v[6:7], v[84:85]
	v_add_f64 v[56:57], v[86:87], -v[82:83]
	v_add_f64 v[68:69], v[76:77], -v[72:73]
	;; [unrolled: 1-line block ×4, first 2 shown]
	v_fma_f64 v[48:49], v[0:1], -0.5, v[4:5]
	v_add_f64 v[0:1], v[84:85], v[80:81]
	v_fma_f64 v[50:51], v[0:1], -0.5, v[6:7]
	v_add_f64 v[0:1], v[4:5], v[219:220]
	v_add_f64 v[6:7], v[2:3], v[80:81]
	v_fma_f64 v[74:75], v[66:67], s[6:7], v[50:51]
	v_add_f64 v[4:5], v[0:1], v[78:79]
	v_add_f64 v[0:1], v[70:71], v[86:87]
	;; [unrolled: 1-line block ×6, first 2 shown]
	v_add_f64 v[4:5], v[4:5], -v[8:9]
	v_add_f64 v[8:9], v[86:87], v[82:83]
	v_add_f64 v[2:3], v[6:7], v[10:11]
	v_add_f64 v[6:7], v[6:7], -v[10:11]
	v_add_f64 v[10:11], v[76:77], v[72:73]
	v_fma_f64 v[70:71], v[8:9], -0.5, v[70:71]
	v_fma_f64 v[58:59], v[10:11], -0.5, v[217:218]
	v_fma_f64 v[12:13], v[68:69], s[8:9], v[70:71]
	v_fma_f64 v[8:9], v[56:57], s[6:7], v[58:59]
	;; [unrolled: 1-line block ×4, first 2 shown]
	v_mul_f64 v[10:11], v[8:9], s[8:9]
	v_mul_f64 v[8:9], v[8:9], 0.5
	v_fma_f64 v[14:15], v[12:13], 0.5, v[10:11]
	v_fma_f64 v[72:73], v[12:13], s[6:7], v[8:9]
	v_fma_f64 v[12:13], v[64:65], s[8:9], v[48:49]
	;; [unrolled: 1-line block ×4, first 2 shown]
	v_mul_f64 v[50:51], v[56:57], s[8:9]
	v_mul_f64 v[56:57], v[56:57], -0.5
	v_add_f64 v[10:11], v[74:75], v[72:73]
	v_add_f64 v[8:9], v[12:13], v[14:15]
	v_add_f64 v[12:13], v[12:13], -v[14:15]
	v_add_f64 v[14:15], v[74:75], -v[72:73]
	v_fma_f64 v[66:67], v[48:49], -0.5, v[50:51]
	v_fma_f64 v[68:69], v[48:49], s[6:7], v[56:57]
	s_mul_i32 s6, s0, 0x1800
	v_add_f64 v[48:49], v[58:59], v[66:67]
	v_add_f64 v[50:51], v[64:65], v[68:69]
	v_add_f64 v[56:57], v[58:59], -v[66:67]
	v_add_f64 v[58:59], v[64:65], -v[68:69]
	ds_write_b128 v209, v[0:3]
	ds_write_b128 v209, v[8:11] offset:96
	ds_write_b128 v209, v[48:51] offset:192
	;; [unrolled: 1-line block ×5, first 2 shown]
	s_waitcnt lgkmcnt(0)
	s_barrier
	buffer_gl0_inv
	ds_read_b128 v[0:3], v200 offset:9216
	ds_read_b128 v[4:7], v200 offset:12288
	s_waitcnt lgkmcnt(1)
	v_mul_f64 v[8:9], v[54:55], v[2:3]
	v_fma_f64 v[48:49], v[52:53], v[0:1], v[8:9]
	v_mul_f64 v[0:1], v[54:55], v[0:1]
	v_fma_f64 v[50:51], v[52:53], v[2:3], -v[0:1]
	ds_read_b128 v[0:3], v200 offset:18432
	ds_read_b128 v[8:11], v200 offset:15360
	s_waitcnt lgkmcnt(1)
	v_mul_f64 v[12:13], v[62:63], v[2:3]
	v_fma_f64 v[52:53], v[60:61], v[0:1], v[12:13]
	v_mul_f64 v[0:1], v[62:63], v[0:1]
	v_fma_f64 v[54:55], v[60:61], v[2:3], -v[0:1]
	ds_read_b128 v[0:3], v200 offset:27648
	ds_read_b128 v[12:15], v200 offset:30720
	s_waitcnt lgkmcnt(1)
	v_mul_f64 v[56:57], v[114:115], v[2:3]
	v_fma_f64 v[56:57], v[112:113], v[0:1], v[56:57]
	v_mul_f64 v[0:1], v[114:115], v[0:1]
	v_add_f64 v[56:57], v[48:49], -v[56:57]
	v_fma_f64 v[58:59], v[112:113], v[2:3], -v[0:1]
	v_mul_f64 v[0:1], v[110:111], v[6:7]
	v_add_f64 v[58:59], v[50:51], -v[58:59]
	v_fma_f64 v[60:61], v[108:109], v[4:5], v[0:1]
	v_mul_f64 v[0:1], v[110:111], v[4:5]
	v_fma_f64 v[62:63], v[108:109], v[6:7], -v[0:1]
	ds_read_b128 v[0:3], v200 offset:21504
	ds_read_b128 v[4:7], v200 offset:24576
	s_waitcnt lgkmcnt(1)
	v_mul_f64 v[64:65], v[102:103], v[2:3]
	v_fma_f64 v[64:65], v[100:101], v[0:1], v[64:65]
	v_mul_f64 v[0:1], v[102:103], v[0:1]
	v_fma_f64 v[66:67], v[100:101], v[2:3], -v[0:1]
	v_mul_f64 v[0:1], v[94:95], v[14:15]
	v_fma_f64 v[68:69], v[92:93], v[12:13], v[0:1]
	v_mul_f64 v[0:1], v[94:95], v[12:13]
	v_fma_f64 v[70:71], v[92:93], v[14:15], -v[0:1]
	;; [unrolled: 4-line block ×3, first 2 shown]
	s_waitcnt lgkmcnt(0)
	v_mul_f64 v[0:1], v[126:127], v[6:7]
	v_fma_f64 v[76:77], v[124:125], v[4:5], v[0:1]
	v_mul_f64 v[0:1], v[126:127], v[4:5]
	v_fma_f64 v[78:79], v[124:125], v[6:7], -v[0:1]
	ds_read_b128 v[0:3], v200 offset:33792
	ds_read_b128 v[4:7], v200
	s_waitcnt lgkmcnt(1)
	v_mul_f64 v[8:9], v[118:119], v[2:3]
	s_waitcnt lgkmcnt(0)
	v_add_f64 v[10:11], v[6:7], -v[54:55]
	v_fma_f64 v[80:81], v[116:117], v[0:1], v[8:9]
	v_mul_f64 v[0:1], v[118:119], v[0:1]
	v_add_f64 v[8:9], v[4:5], -v[52:53]
	v_fma_f64 v[54:55], v[6:7], 2.0, -v[10:11]
	v_fma_f64 v[82:83], v[116:117], v[2:3], -v[0:1]
	v_add_f64 v[0:1], v[8:9], v[58:59]
	v_add_f64 v[2:3], v[10:11], -v[56:57]
	v_fma_f64 v[52:53], v[4:5], 2.0, -v[8:9]
	v_fma_f64 v[4:5], v[8:9], 2.0, -v[0:1]
	;; [unrolled: 1-line block ×3, first 2 shown]
	ds_read_b128 v[8:11], v200 offset:3072
	ds_read_b128 v[12:15], v200 offset:6144
	s_waitcnt lgkmcnt(0)
	s_barrier
	buffer_gl0_inv
	ds_write_b128 v208, v[0:3] offset:1728
	ds_write_b128 v208, v[4:7] offset:576
	v_fma_f64 v[0:1], v[48:49], 2.0, -v[56:57]
	v_fma_f64 v[2:3], v[50:51], 2.0, -v[58:59]
	v_add_f64 v[48:49], v[8:9], -v[64:65]
	v_add_f64 v[50:51], v[10:11], -v[66:67]
	;; [unrolled: 1-line block ×4, first 2 shown]
	v_fma_f64 v[4:5], v[52:53], 2.0, -v[0:1]
	v_fma_f64 v[6:7], v[54:55], 2.0, -v[2:3]
	ds_write_b128 v208, v[0:3] offset:1152
	ds_write_b128 v208, v[4:7]
	v_fma_f64 v[4:5], v[8:9], 2.0, -v[48:49]
	v_fma_f64 v[6:7], v[10:11], 2.0, -v[50:51]
	v_add_f64 v[8:9], v[60:61], -v[68:69]
	v_add_f64 v[10:11], v[62:63], -v[70:71]
	v_fma_f64 v[0:1], v[60:61], 2.0, -v[8:9]
	v_fma_f64 v[2:3], v[62:63], 2.0, -v[10:11]
	v_add_f64 v[0:1], v[4:5], -v[0:1]
	v_add_f64 v[2:3], v[6:7], -v[2:3]
	v_fma_f64 v[4:5], v[4:5], 2.0, -v[0:1]
	v_fma_f64 v[6:7], v[6:7], 2.0, -v[2:3]
	ds_write_b128 v212, v[4:7]
	v_add_f64 v[4:5], v[48:49], v[10:11]
	v_add_f64 v[6:7], v[50:51], -v[8:9]
	v_fma_f64 v[8:9], v[48:49], 2.0, -v[4:5]
	v_fma_f64 v[10:11], v[50:51], 2.0, -v[6:7]
	ds_write_b128 v212, v[8:11] offset:576
	ds_write_b128 v212, v[0:3] offset:1152
	;; [unrolled: 1-line block ×3, first 2 shown]
	v_add_f64 v[8:9], v[12:13], -v[76:77]
	v_add_f64 v[10:11], v[14:15], -v[78:79]
	v_fma_f64 v[4:5], v[12:13], 2.0, -v[8:9]
	v_fma_f64 v[6:7], v[14:15], 2.0, -v[10:11]
	v_add_f64 v[12:13], v[72:73], -v[80:81]
	v_add_f64 v[14:15], v[74:75], -v[82:83]
	v_fma_f64 v[0:1], v[72:73], 2.0, -v[12:13]
	v_fma_f64 v[2:3], v[74:75], 2.0, -v[14:15]
	;; [unrolled: 4-line block ×3, first 2 shown]
	ds_write_b128 v211, v[4:7]
	v_add_f64 v[4:5], v[8:9], v[14:15]
	v_add_f64 v[6:7], v[10:11], -v[12:13]
	v_fma_f64 v[8:9], v[8:9], 2.0, -v[4:5]
	v_fma_f64 v[10:11], v[10:11], 2.0, -v[6:7]
	ds_write_b128 v211, v[8:11] offset:576
	ds_write_b128 v211, v[0:3] offset:1152
	;; [unrolled: 1-line block ×3, first 2 shown]
	s_waitcnt lgkmcnt(0)
	s_barrier
	buffer_gl0_inv
	ds_read_b128 v[0:3], v200 offset:9216
	ds_read_b128 v[4:7], v200 offset:12288
	s_waitcnt lgkmcnt(1)
	v_mul_f64 v[8:9], v[174:175], v[2:3]
	v_fma_f64 v[48:49], v[172:173], v[0:1], v[8:9]
	v_mul_f64 v[0:1], v[174:175], v[0:1]
	v_fma_f64 v[50:51], v[172:173], v[2:3], -v[0:1]
	ds_read_b128 v[0:3], v200 offset:18432
	ds_read_b128 v[8:11], v200 offset:15360
	s_waitcnt lgkmcnt(1)
	v_mul_f64 v[12:13], v[170:171], v[2:3]
	v_fma_f64 v[76:77], v[168:169], v[0:1], v[12:13]
	v_mul_f64 v[0:1], v[170:171], v[0:1]
	v_fma_f64 v[78:79], v[168:169], v[2:3], -v[0:1]
	ds_read_b128 v[0:3], v200 offset:27648
	ds_read_b128 v[12:15], v200 offset:30720
	s_waitcnt lgkmcnt(1)
	v_mul_f64 v[52:53], v[166:167], v[2:3]
	v_fma_f64 v[80:81], v[164:165], v[0:1], v[52:53]
	v_mul_f64 v[0:1], v[166:167], v[0:1]
	v_add_f64 v[80:81], v[48:49], -v[80:81]
	v_fma_f64 v[82:83], v[164:165], v[2:3], -v[0:1]
	v_mul_f64 v[0:1], v[182:183], v[6:7]
	v_add_f64 v[82:83], v[50:51], -v[82:83]
	v_fma_f64 v[56:57], v[180:181], v[4:5], v[0:1]
	v_mul_f64 v[0:1], v[182:183], v[4:5]
	v_fma_f64 v[58:59], v[180:181], v[6:7], -v[0:1]
	ds_read_b128 v[0:3], v200 offset:21504
	ds_read_b128 v[4:7], v200 offset:24576
	s_waitcnt lgkmcnt(1)
	v_mul_f64 v[52:53], v[162:163], v[2:3]
	v_fma_f64 v[68:69], v[160:161], v[0:1], v[52:53]
	v_mul_f64 v[0:1], v[162:163], v[0:1]
	v_fma_f64 v[72:73], v[160:161], v[2:3], -v[0:1]
	v_mul_f64 v[0:1], v[178:179], v[14:15]
	v_fma_f64 v[70:71], v[176:177], v[12:13], v[0:1]
	v_mul_f64 v[0:1], v[178:179], v[12:13]
	v_fma_f64 v[74:75], v[176:177], v[14:15], -v[0:1]
	;; [unrolled: 4-line block ×3, first 2 shown]
	s_waitcnt lgkmcnt(0)
	v_mul_f64 v[0:1], v[194:195], v[6:7]
	v_fma_f64 v[60:61], v[192:193], v[4:5], v[0:1]
	v_mul_f64 v[0:1], v[194:195], v[4:5]
	v_fma_f64 v[62:63], v[192:193], v[6:7], -v[0:1]
	ds_read_b128 v[0:3], v200 offset:33792
	ds_read_b128 v[4:7], v200
	s_waitcnt lgkmcnt(1)
	v_mul_f64 v[8:9], v[186:187], v[2:3]
	s_waitcnt lgkmcnt(0)
	v_add_f64 v[10:11], v[6:7], -v[78:79]
	v_fma_f64 v[64:65], v[184:185], v[0:1], v[8:9]
	v_mul_f64 v[0:1], v[186:187], v[0:1]
	v_add_f64 v[8:9], v[4:5], -v[76:77]
	v_fma_f64 v[78:79], v[6:7], 2.0, -v[10:11]
	v_fma_f64 v[66:67], v[184:185], v[2:3], -v[0:1]
	v_add_f64 v[0:1], v[8:9], v[82:83]
	v_add_f64 v[2:3], v[10:11], -v[80:81]
	v_fma_f64 v[76:77], v[4:5], 2.0, -v[8:9]
	v_fma_f64 v[4:5], v[8:9], 2.0, -v[0:1]
	;; [unrolled: 1-line block ×3, first 2 shown]
	ds_read_b128 v[8:11], v200 offset:3072
	ds_read_b128 v[12:15], v200 offset:6144
	s_waitcnt lgkmcnt(0)
	s_barrier
	buffer_gl0_inv
	ds_write_b128 v205, v[0:3] offset:6912
	ds_write_b128 v205, v[4:7] offset:2304
	v_fma_f64 v[0:1], v[48:49], 2.0, -v[80:81]
	v_fma_f64 v[2:3], v[50:51], 2.0, -v[82:83]
	v_add_f64 v[48:49], v[8:9], -v[68:69]
	v_add_f64 v[50:51], v[10:11], -v[72:73]
	;; [unrolled: 1-line block ×4, first 2 shown]
	v_fma_f64 v[4:5], v[76:77], 2.0, -v[0:1]
	v_fma_f64 v[6:7], v[78:79], 2.0, -v[2:3]
	ds_write_b128 v205, v[0:3] offset:4608
	ds_write_b128 v205, v[4:7]
	v_fma_f64 v[4:5], v[8:9], 2.0, -v[48:49]
	v_fma_f64 v[6:7], v[10:11], 2.0, -v[50:51]
	v_add_f64 v[8:9], v[56:57], -v[70:71]
	v_add_f64 v[10:11], v[58:59], -v[74:75]
	v_fma_f64 v[0:1], v[56:57], 2.0, -v[8:9]
	v_fma_f64 v[2:3], v[58:59], 2.0, -v[10:11]
	v_add_f64 v[0:1], v[4:5], -v[0:1]
	v_add_f64 v[2:3], v[6:7], -v[2:3]
	v_fma_f64 v[4:5], v[4:5], 2.0, -v[0:1]
	v_fma_f64 v[6:7], v[6:7], 2.0, -v[2:3]
	ds_write_b128 v206, v[4:7]
	v_add_f64 v[4:5], v[48:49], v[10:11]
	v_add_f64 v[6:7], v[50:51], -v[8:9]
	v_fma_f64 v[8:9], v[48:49], 2.0, -v[4:5]
	v_fma_f64 v[10:11], v[50:51], 2.0, -v[6:7]
	ds_write_b128 v206, v[8:11] offset:2304
	ds_write_b128 v206, v[0:3] offset:4608
	;; [unrolled: 1-line block ×3, first 2 shown]
	v_add_f64 v[8:9], v[12:13], -v[60:61]
	v_add_f64 v[10:11], v[14:15], -v[62:63]
	v_fma_f64 v[4:5], v[12:13], 2.0, -v[8:9]
	v_fma_f64 v[6:7], v[14:15], 2.0, -v[10:11]
	v_add_f64 v[12:13], v[52:53], -v[64:65]
	v_add_f64 v[14:15], v[54:55], -v[66:67]
	v_fma_f64 v[0:1], v[52:53], 2.0, -v[12:13]
	v_fma_f64 v[2:3], v[54:55], 2.0, -v[14:15]
	;; [unrolled: 4-line block ×3, first 2 shown]
	ds_write_b128 v207, v[4:7]
	v_add_f64 v[4:5], v[8:9], v[14:15]
	v_add_f64 v[6:7], v[10:11], -v[12:13]
	v_fma_f64 v[8:9], v[8:9], 2.0, -v[4:5]
	v_fma_f64 v[10:11], v[10:11], 2.0, -v[6:7]
	ds_write_b128 v207, v[8:11] offset:2304
	ds_write_b128 v207, v[0:3] offset:4608
	;; [unrolled: 1-line block ×3, first 2 shown]
	s_waitcnt lgkmcnt(0)
	s_barrier
	buffer_gl0_inv
	ds_read_b128 v[0:3], v200 offset:9216
	ds_read_b128 v[4:7], v200 offset:12288
	s_waitcnt lgkmcnt(1)
	v_mul_f64 v[8:9], v[122:123], v[2:3]
	v_fma_f64 v[48:49], v[120:121], v[0:1], v[8:9]
	v_mul_f64 v[0:1], v[122:123], v[0:1]
	v_fma_f64 v[50:51], v[120:121], v[2:3], -v[0:1]
	ds_read_b128 v[0:3], v200 offset:18432
	ds_read_b128 v[8:11], v200 offset:15360
	s_waitcnt lgkmcnt(1)
	v_mul_f64 v[12:13], v[106:107], v[2:3]
	v_fma_f64 v[52:53], v[104:105], v[0:1], v[12:13]
	v_mul_f64 v[0:1], v[106:107], v[0:1]
	v_fma_f64 v[54:55], v[104:105], v[2:3], -v[0:1]
	ds_read_b128 v[0:3], v200 offset:27648
	ds_read_b128 v[12:15], v200 offset:30720
	s_waitcnt lgkmcnt(1)
	v_mul_f64 v[56:57], v[98:99], v[2:3]
	v_fma_f64 v[56:57], v[96:97], v[0:1], v[56:57]
	v_mul_f64 v[0:1], v[98:99], v[0:1]
	v_add_f64 v[56:57], v[48:49], -v[56:57]
	v_fma_f64 v[58:59], v[96:97], v[2:3], -v[0:1]
	v_mul_f64 v[0:1], v[138:139], v[6:7]
	v_add_f64 v[58:59], v[50:51], -v[58:59]
	v_fma_f64 v[60:61], v[136:137], v[4:5], v[0:1]
	v_mul_f64 v[0:1], v[138:139], v[4:5]
	v_fma_f64 v[62:63], v[136:137], v[6:7], -v[0:1]
	ds_read_b128 v[0:3], v200 offset:21504
	ds_read_b128 v[4:7], v200 offset:24576
	s_waitcnt lgkmcnt(1)
	v_mul_f64 v[64:65], v[90:91], v[2:3]
	v_fma_f64 v[64:65], v[88:89], v[0:1], v[64:65]
	v_mul_f64 v[0:1], v[90:91], v[0:1]
	v_fma_f64 v[66:67], v[88:89], v[2:3], -v[0:1]
	v_mul_f64 v[0:1], v[130:131], v[14:15]
	v_fma_f64 v[68:69], v[128:129], v[12:13], v[0:1]
	v_mul_f64 v[0:1], v[130:131], v[12:13]
	v_add_f64 v[68:69], v[60:61], -v[68:69]
	v_fma_f64 v[12:13], v[128:129], v[14:15], -v[0:1]
	v_mul_f64 v[0:1], v[154:155], v[10:11]
	v_add_f64 v[84:85], v[62:63], -v[12:13]
	v_fma_f64 v[70:71], v[152:153], v[8:9], v[0:1]
	v_mul_f64 v[0:1], v[154:155], v[8:9]
	v_fma_f64 v[72:73], v[152:153], v[10:11], -v[0:1]
	s_waitcnt lgkmcnt(0)
	v_mul_f64 v[0:1], v[158:159], v[6:7]
	v_fma_f64 v[74:75], v[156:157], v[4:5], v[0:1]
	v_mul_f64 v[0:1], v[158:159], v[4:5]
	v_fma_f64 v[76:77], v[156:157], v[6:7], -v[0:1]
	ds_read_b128 v[0:3], v200 offset:33792
	ds_read_b128 v[4:7], v200
	s_waitcnt lgkmcnt(1)
	v_mul_f64 v[8:9], v[150:151], v[2:3]
	s_waitcnt lgkmcnt(0)
	v_add_f64 v[10:11], v[6:7], -v[54:55]
	v_fma_f64 v[78:79], v[148:149], v[0:1], v[8:9]
	v_mul_f64 v[0:1], v[150:151], v[0:1]
	v_add_f64 v[8:9], v[4:5], -v[52:53]
	v_fma_f64 v[54:55], v[6:7], 2.0, -v[10:11]
	v_add_f64 v[78:79], v[70:71], -v[78:79]
	v_fma_f64 v[80:81], v[148:149], v[2:3], -v[0:1]
	v_add_f64 v[0:1], v[8:9], v[58:59]
	v_add_f64 v[2:3], v[10:11], -v[56:57]
	v_fma_f64 v[52:53], v[4:5], 2.0, -v[8:9]
	v_add_f64 v[80:81], v[72:73], -v[80:81]
	v_fma_f64 v[4:5], v[8:9], 2.0, -v[0:1]
	ds_write_b128 v200, v[0:3] offset:27648
	v_fma_f64 v[6:7], v[10:11], 2.0, -v[2:3]
	ds_read_b128 v[0:3], v200 offset:3072
	ds_read_b128 v[8:11], v200 offset:6144
	s_waitcnt lgkmcnt(1)
	v_add_f64 v[14:15], v[0:1], -v[64:65]
	v_add_f64 v[64:65], v[2:3], -v[66:67]
	v_fma_f64 v[66:67], v[0:1], 2.0, -v[14:15]
	v_fma_f64 v[82:83], v[2:3], 2.0, -v[64:65]
	v_add_f64 v[0:1], v[14:15], v[84:85]
	v_add_f64 v[2:3], v[64:65], -v[68:69]
	v_fma_f64 v[12:13], v[14:15], 2.0, -v[0:1]
	v_fma_f64 v[14:15], v[64:65], 2.0, -v[2:3]
	s_waitcnt lgkmcnt(0)
	v_add_f64 v[64:65], v[8:9], -v[74:75]
	v_add_f64 v[74:75], v[10:11], -v[76:77]
	ds_write_b128 v200, v[0:3] offset:30720
	v_add_f64 v[0:1], v[64:65], v[80:81]
	v_add_f64 v[2:3], v[74:75], -v[78:79]
	v_fma_f64 v[76:77], v[8:9], 2.0, -v[64:65]
	v_fma_f64 v[86:87], v[10:11], 2.0, -v[74:75]
	ds_write_b128 v200, v[0:3] offset:33792
	ds_write_b128 v200, v[4:7] offset:9216
	v_fma_f64 v[8:9], v[64:65], 2.0, -v[0:1]
	v_fma_f64 v[10:11], v[74:75], 2.0, -v[2:3]
	;; [unrolled: 1-line block ×4, first 2 shown]
	v_add_f64 v[0:1], v[52:53], -v[0:1]
	v_add_f64 v[2:3], v[54:55], -v[2:3]
	ds_write_b128 v200, v[0:3] offset:18432
	ds_write_b128 v200, v[12:15] offset:12288
	v_fma_f64 v[4:5], v[52:53], 2.0, -v[0:1]
	v_fma_f64 v[6:7], v[54:55], 2.0, -v[2:3]
	;; [unrolled: 1-line block ×4, first 2 shown]
	v_add_f64 v[0:1], v[66:67], -v[0:1]
	v_add_f64 v[2:3], v[82:83], -v[2:3]
	v_fma_f64 v[12:13], v[66:67], 2.0, -v[0:1]
	v_fma_f64 v[14:15], v[82:83], 2.0, -v[2:3]
	ds_write_b128 v200, v[0:3] offset:21504
	v_fma_f64 v[0:1], v[70:71], 2.0, -v[78:79]
	v_fma_f64 v[2:3], v[72:73], 2.0, -v[80:81]
	v_add_f64 v[0:1], v[76:77], -v[0:1]
	v_add_f64 v[2:3], v[86:87], -v[2:3]
	v_fma_f64 v[48:49], v[76:77], 2.0, -v[0:1]
	v_fma_f64 v[50:51], v[86:87], 2.0, -v[2:3]
	ds_write_b128 v200, v[8:11] offset:15360
	ds_write_b128 v200, v[0:3] offset:24576
	ds_write_b128 v200, v[4:7]
	ds_write_b128 v200, v[12:15] offset:3072
	ds_write_b128 v200, v[48:51] offset:6144
	s_waitcnt lgkmcnt(0)
	s_barrier
	buffer_gl0_inv
	ds_read_b128 v[0:3], v200
	ds_read_b128 v[4:7], v200 offset:33792
	s_clause 0x3
	buffer_load_dword v54, off, s[20:23], 0 offset:36
	buffer_load_dword v55, off, s[20:23], 0 offset:40
	buffer_load_dword v56, off, s[20:23], 0 offset:44
	buffer_load_dword v57, off, s[20:23], 0 offset:48
	ds_read_b128 v[8:11], v200 offset:6144
	ds_read_b128 v[12:15], v200 offset:3072
	s_clause 0x3
	buffer_load_dword v62, off, s[20:23], 0 offset:52
	buffer_load_dword v63, off, s[20:23], 0 offset:56
	;; [unrolled: 1-line block ×4, first 2 shown]
	s_waitcnt vmcnt(4) lgkmcnt(3)
	v_mul_f64 v[48:49], v[56:57], v[2:3]
	v_mul_f64 v[50:51], v[56:57], v[0:1]
	s_waitcnt vmcnt(0) lgkmcnt(1)
	v_mul_f64 v[52:53], v[64:65], v[10:11]
	v_fma_f64 v[56:57], v[54:55], v[0:1], v[48:49]
	v_mul_f64 v[48:49], v[64:65], v[8:9]
	v_fma_f64 v[58:59], v[54:55], v[2:3], -v[50:51]
	ds_read_b128 v[0:3], v200 offset:12288
	v_fma_f64 v[60:61], v[62:63], v[8:9], v[52:53]
	v_fma_f64 v[62:63], v[62:63], v[10:11], -v[48:49]
	ds_read_b128 v[8:11], v200 offset:9216
	s_clause 0x3
	buffer_load_dword v52, off, s[20:23], 0 offset:20
	buffer_load_dword v53, off, s[20:23], 0 offset:24
	;; [unrolled: 1-line block ×4, first 2 shown]
	s_waitcnt vmcnt(0) lgkmcnt(1)
	v_mul_f64 v[48:49], v[54:55], v[2:3]
	v_mul_f64 v[50:51], v[54:55], v[0:1]
	v_fma_f64 v[64:65], v[52:53], v[0:1], v[48:49]
	v_fma_f64 v[66:67], v[52:53], v[2:3], -v[50:51]
	ds_read_b128 v[0:3], v200 offset:18432
	ds_read_b128 v[48:51], v200 offset:15360
	s_waitcnt lgkmcnt(1)
	v_mul_f64 v[52:53], v[34:35], v[2:3]
	v_fma_f64 v[68:69], v[32:33], v[0:1], v[52:53]
	v_mul_f64 v[0:1], v[34:35], v[0:1]
	v_fma_f64 v[70:71], v[32:33], v[2:3], -v[0:1]
	ds_read_b128 v[0:3], v200 offset:24576
	ds_read_b128 v[32:35], v200 offset:21504
	s_clause 0x3
	buffer_load_dword v74, off, s[20:23], 0 offset:4
	buffer_load_dword v75, off, s[20:23], 0 offset:8
	;; [unrolled: 1-line block ×4, first 2 shown]
	s_waitcnt vmcnt(0) lgkmcnt(1)
	v_mul_f64 v[52:53], v[76:77], v[2:3]
	v_fma_f64 v[72:73], v[74:75], v[0:1], v[52:53]
	v_mul_f64 v[0:1], v[76:77], v[0:1]
	v_fma_f64 v[74:75], v[74:75], v[2:3], -v[0:1]
	ds_read_b128 v[0:3], v200 offset:30720
	ds_read_b128 v[52:55], v200 offset:27648
	s_waitcnt lgkmcnt(1)
	v_mul_f64 v[76:77], v[30:31], v[2:3]
	v_fma_f64 v[76:77], v[28:29], v[0:1], v[76:77]
	v_mul_f64 v[0:1], v[30:31], v[0:1]
	v_fma_f64 v[28:29], v[28:29], v[2:3], -v[0:1]
	v_mul_f64 v[0:1], v[38:39], v[14:15]
	v_mad_u64_u32 v[2:3], null, s0, v201, 0
	v_fma_f64 v[30:31], v[36:37], v[12:13], v[0:1]
	v_mul_f64 v[0:1], v[38:39], v[12:13]
	v_mul_f64 v[12:13], v[42:43], v[48:49]
	v_fma_f64 v[36:37], v[36:37], v[14:15], -v[0:1]
	v_mul_f64 v[0:1], v[46:47], v[10:11]
	v_mul_f64 v[14:15], v[18:19], v[4:5]
	v_fma_f64 v[38:39], v[44:45], v[8:9], v[0:1]
	v_mul_f64 v[0:1], v[46:47], v[8:9]
	v_fma_f64 v[96:97], v[16:17], v[6:7], -v[14:15]
	v_fma_f64 v[44:45], v[44:45], v[10:11], -v[0:1]
	v_mad_u64_u32 v[0:1], null, s2, v254, 0
	v_mad_u64_u32 v[8:9], null, s3, v254, v[1:2]
	v_mov_b32_e32 v1, v3
	s_load_dwordx2 s[2:3], s[4:5], 0x38
	s_mul_i32 s4, s1, 0x1800
	s_mul_hi_u32 s5, s0, 0x1800
	v_mad_u64_u32 v[9:10], null, s1, v201, v[1:2]
	v_mul_f64 v[10:11], v[42:43], v[50:51]
	v_mov_b32_e32 v1, v8
	s_add_i32 s5, s5, s4
	v_mov_b32_e32 v3, v9
	v_lshlrev_b64 v[0:1], 4, v[0:1]
	v_mul_f64 v[8:9], v[26:27], v[34:35]
	v_lshlrev_b64 v[2:3], 4, v[2:3]
	s_waitcnt lgkmcnt(0)
	v_add_co_u32 v100, vcc_lo, s2, v0
	v_add_co_ci_u32_e32 v101, vcc_lo, s3, v1, vcc_lo
	v_mul_f64 v[0:1], v[22:23], v[54:55]
	s_mul_i32 s2, s1, 0x3000
	v_fma_f64 v[42:43], v[40:41], v[48:49], v[10:11]
	v_fma_f64 v[40:41], v[40:41], v[50:51], -v[12:13]
	buffer_load_dword v12, off, s[20:23], 0 ; 4-byte Folded Reload
	v_mul_f64 v[10:11], v[26:27], v[32:33]
	v_add_co_u32 v48, vcc_lo, v100, v2
	v_add_co_ci_u32_e32 v49, vcc_lo, v101, v3, vcc_lo
	v_mul_f64 v[2:3], v[22:23], v[52:53]
	v_fma_f64 v[46:47], v[24:25], v[32:33], v[8:9]
	v_mad_u64_u32 v[8:9], null, s0, v255, 0
	v_add_co_u32 v50, vcc_lo, v48, s6
	v_add_co_ci_u32_e32 v51, vcc_lo, s5, v49, vcc_lo
	v_fma_f64 v[52:53], v[20:21], v[52:53], v[0:1]
	v_mov_b32_e32 v0, v9
	v_mad_u64_u32 v[80:81], null, 0x3000, s0, v[50:51]
	v_fma_f64 v[78:79], v[24:25], v[34:35], -v[10:11]
	v_add_nc_u32_e32 v81, s2, v81
	v_fma_f64 v[54:55], v[20:21], v[54:55], -v[2:3]
	v_mad_u64_u32 v[82:83], null, 0x3000, s0, v[80:81]
	v_add_nc_u32_e32 v83, s2, v83
	s_mov_b32 s2, 0x1c71c71c
	s_mov_b32 s3, 0x3f3c71c7
	v_mul_f64 v[14:15], v[70:71], s[2:3]
	v_mad_u64_u32 v[84:85], null, 0xffff9400, s0, v[82:83]
	v_mul_f64 v[20:21], v[76:77], s[2:3]
	v_mul_f64 v[22:23], v[28:29], s[2:3]
	;; [unrolled: 1-line block ×6, first 2 shown]
	v_add_co_u32 v88, vcc_lo, v84, s6
	v_mul_f64 v[32:33], v[42:43], s[2:3]
	v_mul_f64 v[34:35], v[40:41], s[2:3]
	;; [unrolled: 1-line block ×7, first 2 shown]
	s_waitcnt vmcnt(0)
	v_mad_u64_u32 v[10:11], null, s0, v12, 0
	v_mov_b32_e32 v1, v11
	v_mad_u64_u32 v[2:3], null, s1, v255, v[0:1]
	v_mad_u64_u32 v[0:1], null, s1, v12, v[1:2]
	v_mul_f64 v[12:13], v[18:19], v[6:7]
	v_mov_b32_e32 v9, v2
	s_mulk_i32 s1, 0x9400
	v_mul_f64 v[2:3], v[58:59], s[2:3]
	s_sub_i32 s0, s1, s0
	v_mul_f64 v[6:7], v[62:63], s[2:3]
	v_mov_b32_e32 v11, v0
	v_lshlrev_b64 v[0:1], 4, v[8:9]
	v_add_nc_u32_e32 v85, s0, v85
	v_mul_f64 v[8:9], v[64:65], s[2:3]
	v_mul_f64 v[18:19], v[74:75], s[2:3]
	v_lshlrev_b64 v[86:87], 4, v[10:11]
	v_mul_f64 v[10:11], v[66:67], s[2:3]
	v_add_co_ci_u32_e32 v89, vcc_lo, s5, v85, vcc_lo
	v_add_co_u32 v90, vcc_lo, v100, v0
	v_add_co_ci_u32_e32 v91, vcc_lo, v101, v1, vcc_lo
	v_mul_f64 v[0:1], v[56:57], s[2:3]
	v_add_co_u32 v92, vcc_lo, v88, s6
	v_fma_f64 v[94:95], v[16:17], v[4:5], v[12:13]
	v_mul_f64 v[4:5], v[60:61], s[2:3]
	v_mul_f64 v[12:13], v[68:69], s[2:3]
	;; [unrolled: 1-line block ×3, first 2 shown]
	v_add_co_ci_u32_e32 v93, vcc_lo, s5, v89, vcc_lo
	v_add_co_u32 v98, vcc_lo, v92, s6
	v_add_co_ci_u32_e32 v99, vcc_lo, s5, v93, vcc_lo
	v_add_co_u32 v52, vcc_lo, v98, s6
	;; [unrolled: 2-line block ×4, first 2 shown]
	v_mul_f64 v[44:45], v[94:95], s[2:3]
	v_add_co_ci_u32_e32 v57, vcc_lo, s5, v53, vcc_lo
	global_store_dwordx4 v[48:49], v[0:3], off
	global_store_dwordx4 v[50:51], v[4:7], off
	;; [unrolled: 1-line block ×12, first 2 shown]
.LBB0_2:
	s_endpgm
	.section	.rodata,"a",@progbits
	.p2align	6, 0x0
	.amdhsa_kernel bluestein_single_fwd_len2304_dim1_dp_op_CI_CI
		.amdhsa_group_segment_fixed_size 36864
		.amdhsa_private_segment_fixed_size 72
		.amdhsa_kernarg_size 104
		.amdhsa_user_sgpr_count 6
		.amdhsa_user_sgpr_private_segment_buffer 1
		.amdhsa_user_sgpr_dispatch_ptr 0
		.amdhsa_user_sgpr_queue_ptr 0
		.amdhsa_user_sgpr_kernarg_segment_ptr 1
		.amdhsa_user_sgpr_dispatch_id 0
		.amdhsa_user_sgpr_flat_scratch_init 0
		.amdhsa_user_sgpr_private_segment_size 0
		.amdhsa_wavefront_size32 1
		.amdhsa_uses_dynamic_stack 0
		.amdhsa_system_sgpr_private_segment_wavefront_offset 1
		.amdhsa_system_sgpr_workgroup_id_x 1
		.amdhsa_system_sgpr_workgroup_id_y 0
		.amdhsa_system_sgpr_workgroup_id_z 0
		.amdhsa_system_sgpr_workgroup_info 0
		.amdhsa_system_vgpr_workitem_id 0
		.amdhsa_next_free_vgpr 256
		.amdhsa_next_free_sgpr 24
		.amdhsa_reserve_vcc 1
		.amdhsa_reserve_flat_scratch 0
		.amdhsa_float_round_mode_32 0
		.amdhsa_float_round_mode_16_64 0
		.amdhsa_float_denorm_mode_32 3
		.amdhsa_float_denorm_mode_16_64 3
		.amdhsa_dx10_clamp 1
		.amdhsa_ieee_mode 1
		.amdhsa_fp16_overflow 0
		.amdhsa_workgroup_processor_mode 1
		.amdhsa_memory_ordered 1
		.amdhsa_forward_progress 0
		.amdhsa_shared_vgpr_count 0
		.amdhsa_exception_fp_ieee_invalid_op 0
		.amdhsa_exception_fp_denorm_src 0
		.amdhsa_exception_fp_ieee_div_zero 0
		.amdhsa_exception_fp_ieee_overflow 0
		.amdhsa_exception_fp_ieee_underflow 0
		.amdhsa_exception_fp_ieee_inexact 0
		.amdhsa_exception_int_div_zero 0
	.end_amdhsa_kernel
	.text
.Lfunc_end0:
	.size	bluestein_single_fwd_len2304_dim1_dp_op_CI_CI, .Lfunc_end0-bluestein_single_fwd_len2304_dim1_dp_op_CI_CI
                                        ; -- End function
	.section	.AMDGPU.csdata,"",@progbits
; Kernel info:
; codeLenInByte = 15320
; NumSgprs: 26
; NumVgprs: 256
; ScratchSize: 72
; MemoryBound: 0
; FloatMode: 240
; IeeeMode: 1
; LDSByteSize: 36864 bytes/workgroup (compile time only)
; SGPRBlocks: 3
; VGPRBlocks: 31
; NumSGPRsForWavesPerEU: 26
; NumVGPRsForWavesPerEU: 256
; Occupancy: 4
; WaveLimiterHint : 1
; COMPUTE_PGM_RSRC2:SCRATCH_EN: 1
; COMPUTE_PGM_RSRC2:USER_SGPR: 6
; COMPUTE_PGM_RSRC2:TRAP_HANDLER: 0
; COMPUTE_PGM_RSRC2:TGID_X_EN: 1
; COMPUTE_PGM_RSRC2:TGID_Y_EN: 0
; COMPUTE_PGM_RSRC2:TGID_Z_EN: 0
; COMPUTE_PGM_RSRC2:TIDIG_COMP_CNT: 0
	.text
	.p2alignl 6, 3214868480
	.fill 48, 4, 3214868480
	.type	__hip_cuid_e747592a09d1ba7f,@object ; @__hip_cuid_e747592a09d1ba7f
	.section	.bss,"aw",@nobits
	.globl	__hip_cuid_e747592a09d1ba7f
__hip_cuid_e747592a09d1ba7f:
	.byte	0                               ; 0x0
	.size	__hip_cuid_e747592a09d1ba7f, 1

	.ident	"AMD clang version 19.0.0git (https://github.com/RadeonOpenCompute/llvm-project roc-6.4.0 25133 c7fe45cf4b819c5991fe208aaa96edf142730f1d)"
	.section	".note.GNU-stack","",@progbits
	.addrsig
	.addrsig_sym __hip_cuid_e747592a09d1ba7f
	.amdgpu_metadata
---
amdhsa.kernels:
  - .args:
      - .actual_access:  read_only
        .address_space:  global
        .offset:         0
        .size:           8
        .value_kind:     global_buffer
      - .actual_access:  read_only
        .address_space:  global
        .offset:         8
        .size:           8
        .value_kind:     global_buffer
      - .actual_access:  read_only
        .address_space:  global
        .offset:         16
        .size:           8
        .value_kind:     global_buffer
      - .actual_access:  read_only
        .address_space:  global
        .offset:         24
        .size:           8
        .value_kind:     global_buffer
      - .actual_access:  read_only
        .address_space:  global
        .offset:         32
        .size:           8
        .value_kind:     global_buffer
      - .offset:         40
        .size:           8
        .value_kind:     by_value
      - .address_space:  global
        .offset:         48
        .size:           8
        .value_kind:     global_buffer
      - .address_space:  global
        .offset:         56
        .size:           8
        .value_kind:     global_buffer
      - .address_space:  global
        .offset:         64
        .size:           8
        .value_kind:     global_buffer
      - .address_space:  global
        .offset:         72
        .size:           8
        .value_kind:     global_buffer
      - .offset:         80
        .size:           4
        .value_kind:     by_value
      - .address_space:  global
        .offset:         88
        .size:           8
        .value_kind:     global_buffer
      - .address_space:  global
        .offset:         96
        .size:           8
        .value_kind:     global_buffer
    .group_segment_fixed_size: 36864
    .kernarg_segment_align: 8
    .kernarg_segment_size: 104
    .language:       OpenCL C
    .language_version:
      - 2
      - 0
    .max_flat_workgroup_size: 192
    .name:           bluestein_single_fwd_len2304_dim1_dp_op_CI_CI
    .private_segment_fixed_size: 72
    .sgpr_count:     26
    .sgpr_spill_count: 0
    .symbol:         bluestein_single_fwd_len2304_dim1_dp_op_CI_CI.kd
    .uniform_work_group_size: 1
    .uses_dynamic_stack: false
    .vgpr_count:     256
    .vgpr_spill_count: 17
    .wavefront_size: 32
    .workgroup_processor_mode: 1
amdhsa.target:   amdgcn-amd-amdhsa--gfx1030
amdhsa.version:
  - 1
  - 2
...

	.end_amdgpu_metadata
